;; amdgpu-corpus repo=ROCm/rocFFT kind=compiled arch=gfx1201 opt=O3
	.text
	.amdgcn_target "amdgcn-amd-amdhsa--gfx1201"
	.amdhsa_code_object_version 6
	.protected	bluestein_single_back_len77_dim1_half_op_CI_CI ; -- Begin function bluestein_single_back_len77_dim1_half_op_CI_CI
	.globl	bluestein_single_back_len77_dim1_half_op_CI_CI
	.p2align	8
	.type	bluestein_single_back_len77_dim1_half_op_CI_CI,@function
bluestein_single_back_len77_dim1_half_op_CI_CI: ; @bluestein_single_back_len77_dim1_half_op_CI_CI
; %bb.0:
	s_load_b128 s[12:15], s[0:1], 0x28
	v_mul_u32_u24_e32 v1, 0x1746, v0
	s_mov_b32 s2, exec_lo
	s_delay_alu instid0(VALU_DEP_1) | instskip(NEXT) | instid1(VALU_DEP_1)
	v_lshrrev_b32_e32 v1, 16, v1
	v_mad_co_u64_u32 v[8:9], null, ttmp9, 23, v[1:2]
	v_mov_b32_e32 v9, 0
	s_wait_kmcnt 0x0
	s_delay_alu instid0(VALU_DEP_1)
	v_cmpx_gt_u64_e64 s[12:13], v[8:9]
	s_cbranch_execz .LBB0_10
; %bb.1:
	s_clause 0x1
	s_load_b128 s[4:7], s[0:1], 0x18
	s_load_b128 s[8:11], s[0:1], 0x0
	v_mul_lo_u16 v1, v1, 11
                                        ; implicit-def: $vgpr75
                                        ; implicit-def: $vgpr21
                                        ; implicit-def: $vgpr74
                                        ; implicit-def: $vgpr76
                                        ; implicit-def: $vgpr71
                                        ; implicit-def: $vgpr77
	s_delay_alu instid0(VALU_DEP_1) | instskip(NEXT) | instid1(VALU_DEP_1)
	v_sub_nc_u16 v7, v0, v1
	v_and_b32_e32 v32, 0xffff, v7
	s_wait_kmcnt 0x0
	s_load_b128 s[16:19], s[4:5], 0x0
	s_wait_kmcnt 0x0
	v_mad_co_u64_u32 v[0:1], null, s18, v8, 0
	v_mad_co_u64_u32 v[2:3], null, s16, v32, 0
	s_mul_u64 s[2:3], s[16:17], 44
	s_delay_alu instid0(VALU_DEP_1) | instskip(NEXT) | instid1(VALU_DEP_1)
	v_mad_co_u64_u32 v[4:5], null, s19, v8, v[1:2]
	v_mov_b32_e32 v1, v4
	s_delay_alu instid0(VALU_DEP_3) | instskip(SKIP_1) | instid1(VALU_DEP_3)
	v_mad_co_u64_u32 v[5:6], null, s17, v32, v[3:4]
	v_lshlrev_b32_e32 v40, 2, v32
	v_lshlrev_b64_e32 v[0:1], 2, v[0:1]
	s_delay_alu instid0(VALU_DEP_3) | instskip(NEXT) | instid1(VALU_DEP_2)
	v_mov_b32_e32 v3, v5
	v_add_co_u32 v0, vcc_lo, s14, v0
	s_delay_alu instid0(VALU_DEP_3) | instskip(NEXT) | instid1(VALU_DEP_3)
	v_add_co_ci_u32_e32 v1, vcc_lo, s15, v1, vcc_lo
	v_lshlrev_b64_e32 v[2:3], 2, v[2:3]
	s_delay_alu instid0(VALU_DEP_1) | instskip(SKIP_1) | instid1(VALU_DEP_2)
	v_add_co_u32 v0, vcc_lo, v0, v2
	s_wait_alu 0xfffd
	v_add_co_ci_u32_e32 v1, vcc_lo, v1, v3, vcc_lo
	global_load_b32 v4, v[0:1], off
	v_add_co_u32 v0, vcc_lo, v0, s2
	s_wait_alu 0xfffd
	v_add_co_ci_u32_e32 v1, vcc_lo, s3, v1, vcc_lo
	s_clause 0x6
	global_load_b32 v35, v40, s[8:9]
	global_load_b32 v34, v40, s[8:9] offset:44
	global_load_b32 v33, v40, s[8:9] offset:88
	global_load_b32 v30, v40, s[8:9] offset:132
	global_load_b32 v28, v40, s[8:9] offset:176
	global_load_b32 v25, v40, s[8:9] offset:220
	global_load_b32 v23, v40, s[8:9] offset:264
	v_add_co_u32 v2, vcc_lo, v0, s2
	s_wait_alu 0xfffd
	v_add_co_ci_u32_e32 v3, vcc_lo, s3, v1, vcc_lo
	s_clause 0x1
	global_load_b32 v5, v[0:1], off
	global_load_b32 v6, v[2:3], off
	v_add_co_u32 v0, vcc_lo, v2, s2
	s_wait_alu 0xfffd
	v_add_co_ci_u32_e32 v1, vcc_lo, s3, v3, vcc_lo
	s_delay_alu instid0(VALU_DEP_2) | instskip(SKIP_1) | instid1(VALU_DEP_2)
	v_add_co_u32 v2, vcc_lo, v0, s2
	s_wait_alu 0xfffd
	v_add_co_ci_u32_e32 v3, vcc_lo, s3, v1, vcc_lo
	s_clause 0x1
	global_load_b32 v9, v[0:1], off
	global_load_b32 v10, v[2:3], off
	v_add_co_u32 v0, vcc_lo, v2, s2
	s_wait_alu 0xfffd
	v_add_co_ci_u32_e32 v1, vcc_lo, s3, v3, vcc_lo
	s_delay_alu instid0(VALU_DEP_2) | instskip(SKIP_1) | instid1(VALU_DEP_2)
	v_add_co_u32 v2, vcc_lo, v0, s2
	s_wait_alu 0xfffd
	v_add_co_ci_u32_e32 v3, vcc_lo, s3, v1, vcc_lo
	global_load_b32 v0, v[0:1], off
	global_load_b32 v1, v[2:3], off
	v_mul_hi_u32 v2, 0xb21642c9, v8
	s_load_b128 s[4:7], s[6:7], 0x0
	v_cmp_gt_u16_e32 vcc_lo, 7, v7
	s_load_b64 s[2:3], s[0:1], 0x38
	s_delay_alu instid0(VALU_DEP_2) | instskip(NEXT) | instid1(VALU_DEP_1)
	v_lshrrev_b32_e32 v2, 4, v2
	v_mul_lo_u32 v2, v2, 23
	s_delay_alu instid0(VALU_DEP_1) | instskip(NEXT) | instid1(VALU_DEP_1)
	v_sub_nc_u32_e32 v2, v8, v2
	v_mul_u32_u24_e32 v2, 0x4d, v2
	s_delay_alu instid0(VALU_DEP_1) | instskip(NEXT) | instid1(VALU_DEP_1)
	v_lshlrev_b32_e32 v39, 2, v2
	v_add_nc_u32_e32 v26, v40, v39
	s_wait_loadcnt 0xc
	v_lshrrev_b32_e32 v38, 16, v35
	s_wait_loadcnt 0xb
	v_lshrrev_b32_e32 v37, 16, v34
	v_lshrrev_b32_e32 v2, 16, v4
	s_wait_loadcnt 0xa
	v_lshrrev_b32_e32 v36, 16, v33
	s_wait_loadcnt 0x9
	v_lshrrev_b32_e32 v31, 16, v30
	v_mul_f16_e32 v3, v38, v4
	s_wait_loadcnt 0x8
	v_lshrrev_b32_e32 v29, 16, v28
	v_mul_f16_e32 v11, v38, v2
	s_wait_loadcnt 0x7
	v_lshrrev_b32_e32 v27, 16, v25
	s_wait_loadcnt 0x6
	v_lshrrev_b32_e32 v24, 16, v23
	v_fma_f16 v2, v35, v2, -v3
	s_wait_loadcnt 0x5
	v_lshrrev_b32_e32 v12, 16, v5
	v_mul_f16_e32 v13, v37, v5
	v_fmac_f16_e32 v11, v35, v4
	s_delay_alu instid0(VALU_DEP_3) | instskip(NEXT) | instid1(VALU_DEP_3)
	v_mul_f16_e32 v3, v37, v12
	v_fma_f16 v4, v34, v12, -v13
	s_wait_loadcnt 0x4
	v_lshrrev_b32_e32 v12, 16, v6
	v_mul_f16_e32 v13, v36, v6
	v_pack_b32_f16 v2, v11, v2
	v_fmac_f16_e32 v3, v34, v5
	s_delay_alu instid0(VALU_DEP_4)
	v_mul_f16_e32 v11, v36, v12
	s_wait_loadcnt 0x3
	v_lshrrev_b32_e32 v5, 16, v9
	v_fma_f16 v12, v33, v12, -v13
	v_mul_f16_e32 v13, v31, v9
	v_pack_b32_f16 v3, v3, v4
	v_fmac_f16_e32 v11, v33, v6
	v_mul_f16_e32 v4, v31, v5
	s_wait_loadcnt 0x2
	v_lshrrev_b32_e32 v6, 16, v10
	v_fma_f16 v5, v30, v5, -v13
	v_mul_f16_e32 v13, v29, v10
	v_fmac_f16_e32 v4, v30, v9
	s_delay_alu instid0(VALU_DEP_4) | instskip(NEXT) | instid1(VALU_DEP_3)
	v_mul_f16_e32 v14, v29, v6
	v_fma_f16 v6, v28, v6, -v13
	s_wait_loadcnt 0x1
	v_lshrrev_b32_e32 v9, 16, v0
	s_wait_loadcnt 0x0
	v_lshrrev_b32_e32 v15, 16, v1
	v_mul_f16_e32 v13, v27, v0
	v_mul_f16_e32 v17, v24, v1
	v_fmac_f16_e32 v14, v28, v10
	v_mul_f16_e32 v16, v27, v9
	v_mul_f16_e32 v18, v24, v15
	v_fma_f16 v9, v25, v9, -v13
	v_pack_b32_f16 v4, v4, v5
	v_pack_b32_f16 v5, v14, v6
	v_fmac_f16_e32 v16, v25, v0
	v_fma_f16 v0, v23, v15, -v17
	v_fmac_f16_e32 v18, v23, v1
	v_pack_b32_f16 v1, v11, v12
	v_add_co_u32 v11, s0, s8, v40
	v_pack_b32_f16 v6, v16, v9
	s_delay_alu instid0(VALU_DEP_4)
	v_pack_b32_f16 v0, v18, v0
	ds_store_2addr_b32 v26, v2, v3 offset1:11
	ds_store_2addr_b32 v26, v1, v4 offset0:22 offset1:33
	ds_store_2addr_b32 v26, v5, v6 offset0:44 offset1:55
	ds_store_b32 v26, v0 offset:264
	global_wb scope:SCOPE_SE
	s_wait_dscnt 0x0
	s_wait_kmcnt 0x0
	s_barrier_signal -1
	s_barrier_wait -1
	global_inv scope:SCOPE_SE
	ds_load_2addr_b32 v[0:1], v26 offset1:11
	ds_load_2addr_b32 v[2:3], v26 offset0:22 offset1:33
	ds_load_b32 v6, v26 offset:264
	ds_load_2addr_b32 v[4:5], v26 offset0:44 offset1:55
	v_mul_lo_u16 v9, v7, 7
	s_wait_alu 0xf1ff
	v_add_co_ci_u32_e64 v12, null, s9, 0, s0
	global_wb scope:SCOPE_SE
	s_wait_dscnt 0x0
	s_barrier_signal -1
	v_and_b32_e32 v7, 0xffff, v9
	s_barrier_wait -1
	global_inv scope:SCOPE_SE
	v_lshl_add_u32 v41, v7, 2, v39
	v_pk_add_f16 v7, v1, v6
	v_pk_add_f16 v9, v2, v5
	v_pk_add_f16 v2, v2, v5 neg_lo:[0,1] neg_hi:[0,1]
	v_pk_add_f16 v5, v3, v4
	v_pk_add_f16 v3, v4, v3 neg_lo:[0,1] neg_hi:[0,1]
	v_pk_add_f16 v1, v1, v6 neg_lo:[0,1] neg_hi:[0,1]
	v_pk_add_f16 v4, v9, v7
	v_pk_add_f16 v6, v9, v7 neg_lo:[0,1] neg_hi:[0,1]
	v_pk_add_f16 v7, v7, v5 neg_lo:[0,1] neg_hi:[0,1]
	v_pk_add_f16 v10, v3, v2 op_sel:[1,1] op_sel_hi:[0,0]
	v_pk_add_f16 v14, v1, v3 op_sel:[1,1] op_sel_hi:[0,0] neg_lo:[0,1] neg_hi:[0,1]
	v_pk_add_f16 v13, v2, v1 op_sel:[1,1] op_sel_hi:[0,0] neg_lo:[0,1] neg_hi:[0,1]
	;; [unrolled: 1-line block ×3, first 2 shown]
	v_pk_add_f16 v3, v5, v4
	v_pk_add_f16 v9, v5, v9 neg_lo:[0,1] neg_hi:[0,1]
	v_pk_mul_f16 v4, 0x3a52, v7 op_sel_hi:[0,1]
	v_pk_mul_f16 v5, 0x3b00, v13 op_sel_hi:[0,1]
	;; [unrolled: 1-line block ×3, first 2 shown]
	v_pk_add_f16 v13, v3, v0
	v_pk_mul_f16 v0, 0x3574, v14 op_sel_hi:[0,1]
	v_pk_add_f16 v1, v10, v1 op_sel:[0,1] op_sel_hi:[1,0]
	v_pk_fma_f16 v6, 0x39e0, v6, v4 op_sel_hi:[0,1,1] neg_lo:[0,1,1] neg_hi:[0,1,1]
	v_pk_fma_f16 v10, 0x3574, v14, v5 op_sel_hi:[0,1,1] neg_lo:[0,1,1] neg_hi:[0,1,1]
	;; [unrolled: 1-line block ×3, first 2 shown]
	v_pk_fma_f16 v3, 0xbcab, v3, v13 op_sel_hi:[0,1,1]
	v_pk_fma_f16 v5, 0xb846, v2, v5 op_sel_hi:[0,1,1] neg_lo:[0,1,0] neg_hi:[0,1,0]
	v_pk_fma_f16 v4, 0x2b26, v9, v4 op_sel_hi:[0,1,1]
	v_pk_fma_f16 v0, 0xb846, v2, v0 op_sel_hi:[0,1,1]
	;; [unrolled: 1-line block ×3, first 2 shown]
	v_pk_add_f16 v6, v6, v3
	v_pk_fma_f16 v5, 0x370e, v1, v5 op_sel_hi:[0,1,1]
	v_pk_add_f16 v7, v7, v3
	v_pk_fma_f16 v0, 0x370e, v1, v0 op_sel_hi:[0,1,1]
	v_pk_add_f16 v1, v4, v3
	v_pk_add_f16 v15, v6, v2
	v_pk_add_f16 v18, v6, v2 neg_lo:[0,1] neg_hi:[0,1]
	v_pk_add_f16 v16, v7, v5 neg_lo:[0,1] neg_hi:[0,1]
	v_pk_add_f16 v17, v7, v5
	v_pk_add_f16 v14, v1, v0
	v_pk_add_f16 v19, v1, v0 neg_lo:[0,1] neg_hi:[0,1]
	v_lshrrev_b32_e32 v65, 16, v18
	v_lshrrev_b32_e32 v66, 16, v16
	v_bfi_b32 v1, 0xffff, v16, v17
	v_lshrrev_b32_e32 v55, 16, v17
	v_lshrrev_b32_e32 v53, 16, v19
	;; [unrolled: 1-line block ×4, first 2 shown]
	v_bfi_b32 v0, 0xffff, v15, v18
	v_bfi_b32 v5, 0xffff, v14, v19
	;; [unrolled: 1-line block ×5, first 2 shown]
	ds_store_2addr_b32 v41, v13, v1 offset1:3
	ds_store_2addr_b32 v41, v5, v0 offset0:1 offset1:2
	ds_store_2addr_b32 v41, v3, v2 offset0:4 offset1:5
	ds_store_b32 v41, v4 offset:24
	global_wb scope:SCOPE_SE
	s_wait_dscnt 0x0
	s_barrier_signal -1
	s_barrier_wait -1
	global_inv scope:SCOPE_SE
	s_and_saveexec_b32 s0, vcc_lo
	s_cbranch_execz .LBB0_3
; %bb.2:
	ds_load_2addr_b32 v[13:14], v26 offset1:7
	ds_load_2addr_b32 v[15:16], v26 offset0:14 offset1:21
	ds_load_2addr_b32 v[17:18], v26 offset0:28 offset1:35
	;; [unrolled: 1-line block ×4, first 2 shown]
	ds_load_b32 v71, v26 offset:280
	s_wait_dscnt 0x5
	v_lshrrev_b32_e32 v53, 16, v14
	s_wait_dscnt 0x4
	v_lshrrev_b32_e32 v65, 16, v15
	v_lshrrev_b32_e32 v55, 16, v16
	s_wait_dscnt 0x3
	v_lshrrev_b32_e32 v66, 16, v17
	;; [unrolled: 3-line block ×5, first 2 shown]
.LBB0_3:
	s_wait_alu 0xfffe
	s_or_b32 exec_lo, exec_lo, s0
	v_add_nc_u32_e32 v0, -7, v32
	v_lshrrev_b32_e32 v54, 16, v13
	s_delay_alu instid0(VALU_DEP_2) | instskip(NEXT) | instid1(VALU_DEP_1)
	v_cndmask_b32_e32 v0, v0, v32, vcc_lo
	v_mul_hi_i32_i24_e32 v1, 10, v0
	v_mul_i32_i24_e32 v0, 10, v0
	s_delay_alu instid0(VALU_DEP_1) | instskip(NEXT) | instid1(VALU_DEP_1)
	v_lshlrev_b64_e32 v[0:1], 2, v[0:1]
	v_add_co_u32 v9, s0, s10, v0
	s_wait_alu 0xf1ff
	s_delay_alu instid0(VALU_DEP_2)
	v_add_co_ci_u32_e64 v10, s0, s11, v1, s0
	s_clause 0x2
	global_load_b128 v[4:7], v[9:10], off
	global_load_b128 v[0:3], v[9:10], off offset:16
	global_load_b64 v[9:10], v[9:10], off offset:32
	s_wait_loadcnt 0x2
	v_lshrrev_b32_e32 v50, 16, v4
	v_lshrrev_b32_e32 v44, 16, v7
	s_wait_loadcnt 0x0
	v_lshrrev_b32_e32 v51, 16, v10
	v_lshrrev_b32_e32 v48, 16, v5
	;; [unrolled: 1-line block ×7, first 2 shown]
	v_mul_f16_e32 v67, v53, v50
	v_mul_f16_e32 v68, v14, v50
	;; [unrolled: 1-line block ×5, first 2 shown]
	v_lshrrev_b32_e32 v46, 16, v6
	v_mul_f16_e32 v70, v65, v48
	v_mul_f16_e32 v64, v15, v48
	;; [unrolled: 1-line block ×9, first 2 shown]
	v_fma_f16 v73, v14, v4, -v67
	v_fmac_f16_e32 v68, v53, v4
	v_fma_f16 v67, v17, v7, -v79
	v_fma_f16 v17, v71, v10, -v85
	v_fmac_f16_e32 v56, v77, v10
	v_mul_f16_e32 v78, v55, v46
	v_mul_f16_e32 v63, v16, v46
	;; [unrolled: 1-line block ×6, first 2 shown]
	v_fma_f16 v72, v15, v5, -v70
	v_fmac_f16_e32 v64, v65, v5
	v_fmac_f16_e32 v62, v66, v7
	v_fma_f16 v66, v18, v0, -v80
	v_fma_f16 v65, v19, v1, -v81
	;; [unrolled: 1-line block ×5, first 2 shown]
	v_fmac_f16_e32 v57, v76, v9
	v_sub_f16_e32 v83, v73, v17
	v_sub_f16_e32 v82, v68, v56
	v_fma_f16 v70, v16, v6, -v78
	v_fmac_f16_e32 v63, v55, v6
	v_fmac_f16_e32 v61, v69, v0
	;; [unrolled: 1-line block ×3, first 2 shown]
	v_add_f16_e32 v69, v73, v17
	v_add_f16_e32 v71, v68, v56
	v_sub_f16_e32 v85, v72, v18
	v_sub_f16_e32 v84, v64, v57
	v_mul_f16_e32 v97, 0xb853, v82
	v_mul_f16_e32 v98, 0xb853, v83
	;; [unrolled: 1-line block ×7, first 2 shown]
	v_mul_f16_e64 v129, 0xba0c, v83
	v_fmac_f16_e32 v59, v75, v2
	v_add_f16_e32 v74, v72, v18
	v_add_f16_e32 v75, v64, v57
	v_sub_f16_e32 v86, v63, v58
	v_sub_f16_e32 v117, v70, v19
	v_mul_f16_e32 v87, 0xbb47, v84
	v_mul_f16_e32 v89, 0xbb47, v85
	;; [unrolled: 1-line block ×8, first 2 shown]
	v_fmamk_f16 v14, v69, 0x3abb, v97
	v_fmamk_f16 v15, v69, 0x36a6, v101
	;; [unrolled: 1-line block ×3, first 2 shown]
	v_fma_f16 v21, v71, 0x3abb, -v98
	v_fma_f16 v53, v71, 0x36a6, -v109
	;; [unrolled: 1-line block ×3, first 2 shown]
	v_fma_f16 v136, 0xb93d, v69, v120
	v_fma_f16 v139, v71, 0xb93d, -v129
	v_fmac_f16_e32 v60, v52, v1
	v_add_f16_e32 v76, v70, v19
	v_sub_f16_e32 v95, v62, v59
	v_add_f16_e32 v79, v63, v58
	v_sub_f16_e32 v127, v67, v20
	v_mul_f16_e32 v88, 0xbbeb, v86
	v_mul_f16_e32 v104, 0x3482, v86
	v_mul_f16_e32 v108, 0x3b47, v86
	v_mul_f16_e32 v94, 0xbbeb, v117
	v_mul_f16_e32 v110, 0x3482, v117
	v_mul_f16_e32 v118, 0x3b47, v117
	v_mul_f16_e32 v121, 0xb853, v86
	v_mul_f16_e32 v124, 0xb853, v117
	v_fmamk_f16 v22, v74, 0xb93d, v103
	v_fmamk_f16 v52, v74, 0xbbad, v107
	v_fma_f16 v140, 0x36a6, v74, v87
	v_fma_f16 v141, v75, 0x36a6, -v89
	v_fma_f16 v142, v75, 0xb93d, -v106
	v_fma_f16 v143, v75, 0xbbad, -v116
	v_fma_f16 v144, 0xb08e, v74, v123
	v_fma_f16 v145, v75, 0xb08e, -v126
	v_add_f16_e32 v15, v15, v13
	v_add_f16_e32 v16, v16, v13
	;; [unrolled: 1-line block ×5, first 2 shown]
	v_add_f16_e64 v133, v133, v54
	v_add_f16_e64 v136, v136, v13
	v_add_f16_e64 v139, v139, v54
	v_add_f16_e32 v77, v67, v20
	v_sub_f16_e32 v96, v61, v60
	v_add_f16_e32 v80, v62, v59
	v_sub_f16_e64 v131, v66, v65
	v_mul_f16_e32 v100, 0x3beb, v95
	v_mul_f16_e32 v105, 0xb853, v95
	;; [unrolled: 1-line block ×8, first 2 shown]
	v_fmamk_f16 v55, v76, 0xbbad, v104
	v_fma_f16 v132, 0x36a6, v76, v108
	v_fma_f16 v146, 0xb08e, v76, v88
	v_fma_f16 v147, v79, 0xb08e, -v94
	v_fma_f16 v148, v79, 0xbbad, -v110
	;; [unrolled: 1-line block ×3, first 2 shown]
	v_fma_f16 v150, 0x3abb, v76, v121
	v_fma_f16 v151, v79, 0x3abb, -v124
	v_add_f16_e32 v15, v22, v15
	v_add_f16_e32 v16, v52, v16
	v_add_f16_e64 v14, v140, v14
	v_add_f16_e64 v21, v141, v21
	;; [unrolled: 1-line block ×6, first 2 shown]
	v_add_f16_e32 v78, v66, v65
	v_add_f16_e32 v81, v61, v60
	v_mul_f16_e32 v99, 0x3853, v96
	v_mul_f16_e32 v102, 0xba0c, v96
	;; [unrolled: 1-line block ×3, first 2 shown]
	v_mul_f16_e64 v93, 0xb482, v131
	v_mul_f16_e64 v112, 0x3853, v131
	;; [unrolled: 1-line block ×5, first 2 shown]
	v_fma_f16 v134, 0xb08e, v77, v100
	v_fma_f16 v135, 0x3abb, v77, v105
	;; [unrolled: 1-line block ×3, first 2 shown]
	v_fma_f16 v153, v80, 0xb93d, -v92
	v_fma_f16 v154, v80, 0xb08e, -v111
	;; [unrolled: 1-line block ×3, first 2 shown]
	v_fma_f16 v156, 0xbbad, v77, v122
	v_fma_f16 v157, v80, 0xbbad, -v125
	v_add_f16_e32 v15, v55, v15
	v_add_f16_e64 v16, v132, v16
	v_add_f16_e64 v14, v146, v14
	;; [unrolled: 1-line block ×7, first 2 shown]
	v_fma_f16 v137, 0x3abb, v78, v99
	v_fma_f16 v138, 0xb93d, v78, v102
	;; [unrolled: 1-line block ×3, first 2 shown]
	v_fma_f16 v159, v81, 0xbbad, -v93
	v_fma_f16 v160, v81, 0x3abb, -v112
	;; [unrolled: 1-line block ×4, first 2 shown]
	v_fma_f16 v163, 0x36a6, v78, v130
	v_add_f16_e64 v15, v134, v15
	v_add_f16_e64 v132, v135, v16
	v_add_f16_e64 v14, v152, v14
	v_add_f16_e64 v21, v153, v21
	v_add_f16_e64 v22, v154, v22
	v_add_f16_e64 v133, v155, v52
	v_add_f16_e64 v134, v156, v53
	v_add_f16_e64 v135, v157, v55
	v_add_f16_e64 v16, v137, v15
	v_add_f16_e64 v15, v138, v132
	v_add_f16_e64 v52, v158, v14
	v_add_f16_e64 v55, v159, v21
	v_add_f16_e64 v53, v160, v22
	v_add_f16_e64 v22, v161, v133
	v_add_f16_e64 v21, v162, v135
	v_add_f16_e64 v14, v163, v134
	s_and_saveexec_b32 s0, vcc_lo
	s_cbranch_execz .LBB0_5
; %bb.4:
	v_add_f16_e32 v68, v68, v54
	v_add_f16_e32 v73, v73, v13
	v_mul_f16_e64 v132, 0x3abb, v69
	v_mul_f16_e64 v133, 0x3abb, v71
	;; [unrolled: 1-line block ×3, first 2 shown]
	v_add_f16_e32 v64, v68, v64
	v_add_f16_e32 v68, v73, v72
	v_mul_f16_e64 v135, 0x36a6, v71
	v_mul_f16_e64 v136, 0xb08e, v69
	v_mul_f16_e64 v137, 0xb08e, v71
	v_add_f16_e32 v63, v64, v63
	v_add_f16_e32 v64, v68, v70
	v_mul_f16_e64 v139, 0xb93d, v71
	v_mul_f16_e32 v83, 0xb482, v83
	v_mul_f16_e64 v138, 0xb93d, v69
	v_add_f16_e32 v62, v63, v62
	v_add_f16_e32 v63, v64, v67
	v_mul_f16_e32 v82, 0xb482, v82
	v_mul_f16_e64 v140, 0x36a6, v74
	v_mul_f16_e64 v141, 0x36a6, v75
	v_add_f16_e32 v61, v62, v61
	v_add_f16_e32 v62, v63, v66
	v_mul_f16_e64 v142, 0xb93d, v74
	v_mul_f16_e64 v143, 0xb93d, v75
	;; [unrolled: 1-line block ×3, first 2 shown]
	v_add_f16_e32 v60, v61, v60
	v_add_f16_e32 v61, v62, v65
	v_fma_f16 v167, 0xbbad, v71, v83
	v_mul_f16_e32 v85, 0x3853, v85
	v_add_f16_e64 v129, v129, v139
	v_add_f16_e64 v115, v115, v137
	v_sub_f16_e64 v113, v136, v113
	v_add_f16_e64 v109, v109, v135
	v_sub_f16_e64 v101, v134, v101
	;; [unrolled: 2-line block ×3, first 2 shown]
	v_fma_f16 v62, v71, 0xbbad, -v83
	v_add_f16_e32 v59, v60, v59
	v_add_f16_e32 v20, v61, v20
	v_mul_f16_e64 v145, 0xbbad, v75
	v_mul_f16_e64 v146, 0xb08e, v74
	;; [unrolled: 1-line block ×3, first 2 shown]
	v_sub_f16_e64 v120, v138, v120
	v_fma_f16 v172, v69, 0xbbad, -v82
	v_mul_f16_e32 v84, 0x3853, v84
	v_fmac_f16_e32 v82, 0xbbad, v69
	v_mul_f16_e64 v148, 0xb08e, v76
	v_mul_f16_e64 v149, 0xb08e, v79
	;; [unrolled: 1-line block ×5, first 2 shown]
	v_add_f16_e64 v167, v167, v54
	v_mul_f16_e32 v117, 0xba0c, v117
	v_add_f16_e64 v129, v129, v54
	v_add_f16_e32 v115, v115, v54
	v_add_f16_e32 v113, v113, v13
	v_sub_f16_e64 v107, v144, v107
	v_add_f16_e32 v109, v109, v54
	v_add_f16_e64 v106, v106, v143
	v_add_f16_e32 v101, v101, v13
	v_sub_f16_e64 v103, v142, v103
	v_add_f16_e32 v98, v98, v54
	v_add_f16_e64 v89, v89, v141
	v_add_f16_e32 v97, v97, v13
	v_sub_f16_e64 v72, v140, v87
	v_add_f16_e32 v54, v62, v54
	v_fma_f16 v60, v75, 0x3abb, -v85
	v_add_f16_e32 v58, v59, v58
	v_add_f16_e32 v19, v20, v19
	v_mul_f16_e64 v153, 0x36a6, v79
	v_mul_f16_e64 v154, 0x3abb, v76
	v_mul_f16_e64 v155, 0x3abb, v79
	v_add_f16_e64 v126, v126, v147
	v_add_f16_e32 v120, v120, v13
	v_sub_f16_e64 v123, v146, v123
	v_add_f16_e64 v116, v116, v145
	v_fma_f16 v170, 0x3abb, v75, v85
	v_add_f16_e64 v172, v172, v13
	v_fma_f16 v173, v74, 0x3abb, -v84
	v_mul_f16_e32 v86, 0xba0c, v86
	v_add_f16_e32 v13, v82, v13
	v_fmac_f16_e32 v84, 0x3abb, v74
	v_mul_f16_e64 v156, 0xb93d, v77
	v_mul_f16_e64 v157, 0xb93d, v80
	;; [unrolled: 1-line block ×5, first 2 shown]
	v_add_f16_e32 v107, v107, v113
	v_sub_f16_e64 v108, v152, v108
	v_add_f16_e32 v106, v106, v109
	v_add_f16_e64 v109, v110, v151
	v_add_f16_e32 v101, v103, v101
	v_sub_f16_e64 v103, v150, v104
	v_add_f16_e32 v73, v89, v98
	v_add_f16_e64 v87, v94, v149
	v_add_f16_e32 v68, v72, v97
	v_sub_f16_e64 v70, v148, v88
	v_add_f16_e32 v20, v60, v54
	v_fma_f16 v54, v79, 0xb93d, -v117
	v_add_f16_e32 v57, v58, v57
	v_add_f16_e32 v18, v19, v18
	v_mul_f16_e64 v161, 0x3abb, v80
	v_mul_f16_e64 v162, 0xbbad, v77
	v_mul_f16_e64 v163, 0xbbad, v80
	v_add_f16_e64 v126, v126, v129
	v_add_f16_e64 v124, v124, v155
	v_add_f16_e32 v120, v123, v120
	v_sub_f16_e64 v121, v154, v121
	v_add_f16_e32 v115, v116, v115
	v_add_f16_e64 v116, v118, v153
	v_add_f16_e64 v167, v170, v167
	v_fma_f16 v170, 0xb93d, v79, v117
	v_mul_f16_e32 v127, 0x3b47, v127
	v_add_f16_e64 v172, v173, v172
	v_fma_f16 v173, v76, 0xb93d, -v86
	v_mul_f16_e32 v95, 0x3b47, v95
	v_add_f16_e32 v13, v84, v13
	v_fmac_f16_e32 v86, 0xb93d, v76
	v_mul_f16_e64 v164, 0xbbad, v78
	v_mul_f16_e64 v165, 0xbbad, v81
	;; [unrolled: 1-line block ×5, first 2 shown]
	v_add_f16_e32 v104, v108, v107
	v_sub_f16_e64 v105, v160, v105
	v_add_f16_e32 v106, v109, v106
	v_add_f16_e64 v107, v111, v159
	v_add_f16_e32 v101, v103, v101
	v_sub_f16_e64 v100, v158, v100
	v_add_f16_e32 v72, v87, v73
	v_add_f16_e64 v64, v92, v157
	v_add_f16_e32 v67, v70, v68
	v_sub_f16_e64 v68, v156, v91
	v_add_f16_e32 v19, v54, v20
	v_add_f16_e32 v20, v57, v56
	;; [unrolled: 1-line block ×3, first 2 shown]
	v_mul_f16_e64 v171, 0xb93d, v81
	v_mul_f16_e64 v174, 0x36a6, v78
	;; [unrolled: 1-line block ×3, first 2 shown]
	v_add_f16_e32 v123, v124, v126
	v_add_f16_e64 v124, v125, v163
	v_add_f16_e32 v120, v121, v120
	v_sub_f16_e64 v121, v162, v122
	v_add_f16_e32 v115, v116, v115
	v_add_f16_e64 v116, v119, v161
	v_add_f16_e64 v167, v170, v167
	v_fma_f16 v170, 0x36a6, v80, v127
	v_mul_f16_e64 v131, 0xbbeb, v131
	v_add_f16_e64 v172, v173, v172
	v_fma_f16 v173, v77, 0x36a6, -v95
	v_mul_f16_e32 v96, 0xbbeb, v96
	v_fma_f16 v18, v80, 0x36a6, -v127
	v_add_f16_e32 v13, v86, v13
	v_fmac_f16_e32 v95, 0x36a6, v77
	v_add_f16_e32 v103, v105, v104
	v_sub_f16_e64 v102, v169, v102
	v_add_f16_e32 v104, v107, v106
	v_add_f16_e64 v105, v112, v168
	v_add_f16_e32 v100, v100, v101
	v_sub_f16_e64 v99, v166, v99
	v_add_f16_e32 v63, v64, v72
	v_add_f16_e64 v64, v93, v165
	v_add_f16_e32 v66, v68, v67
	v_sub_f16_e64 v65, v164, v90
	v_lshlrev_b32_e32 v20, 16, v20
	v_and_b32_e32 v17, 0xffff, v17
	v_add_f16_e32 v118, v124, v123
	v_add_f16_e64 v122, v128, v175
	v_add_f16_e32 v120, v121, v120
	v_sub_f16_e64 v121, v174, v130
	v_add_f16_e32 v115, v116, v115
	v_add_f16_e64 v114, v114, v171
	v_add_f16_e64 v167, v170, v167
	v_fma_f16 v170, 0xb08e, v81, v131
	v_add_f16_e64 v138, v173, v172
	v_fma_f16 v146, v78, 0xb08e, -v96
	v_add_f16_e32 v18, v18, v19
	v_fma_f16 v19, v81, 0xb08e, -v131
	v_add_f16_e32 v13, v95, v13
	v_fmac_f16_e32 v96, 0xb08e, v78
	v_add_f16_e32 v102, v102, v103
	v_add_f16_e32 v103, v105, v104
	;; [unrolled: 1-line block ×3, first 2 shown]
	v_or_b32_e32 v17, v20, v17
	v_add_f16_e32 v20, v64, v63
	v_add_f16_e32 v54, v65, v66
	;; [unrolled: 1-line block ×5, first 2 shown]
	v_add_f16_e64 v139, v170, v167
	v_add_f16_e64 v119, v146, v138
	v_add_f16_e32 v18, v19, v18
	v_add_f16_e32 v13, v96, v13
	ds_store_b32 v26, v17
	v_lshl_add_u32 v17, v32, 2, v39
	v_pack_b32_f16 v19, v54, v20
	v_pack_b32_f16 v20, v99, v103
	;; [unrolled: 1-line block ×6, first 2 shown]
	v_perm_b32 v18, v21, v14, 0x5040100
	v_perm_b32 v58, v22, v15, 0x5040100
	;; [unrolled: 1-line block ×4, first 2 shown]
	ds_store_2addr_b32 v17, v19, v20 offset0:7 offset1:14
	ds_store_2addr_b32 v17, v54, v56 offset0:21 offset1:28
	;; [unrolled: 1-line block ×5, first 2 shown]
.LBB0_5:
	s_wait_alu 0xfffe
	s_or_b32 exec_lo, exec_lo, s0
	global_wb scope:SCOPE_SE
	s_wait_dscnt 0x0
	s_barrier_signal -1
	s_barrier_wait -1
	global_inv scope:SCOPE_SE
	global_load_b32 v13, v[11:12], off offset:308
	s_add_nc_u64 s[0:1], s[8:9], 0x134
	s_clause 0x5
	global_load_b32 v54, v40, s[0:1] offset:44
	global_load_b32 v56, v40, s[0:1] offset:264
	;; [unrolled: 1-line block ×6, first 2 shown]
	ds_load_2addr_b32 v[11:12], v26 offset1:11
	ds_load_b32 v60, v26 offset:264
	s_wait_dscnt 0x1
	v_lshrrev_b32_e32 v17, 16, v11
	s_wait_dscnt 0x0
	v_lshrrev_b32_e32 v61, 16, v60
	s_wait_loadcnt 0x4
	v_lshrrev_b32_e32 v62, 16, v56
	v_lshrrev_b32_e32 v18, 16, v13
	s_wait_loadcnt 0x3
	v_lshrrev_b32_e32 v63, 16, v57
	s_wait_loadcnt 0x2
	v_lshrrev_b32_e32 v65, 16, v58
	v_mul_f16_e32 v66, v61, v62
	v_mul_f16_e32 v19, v17, v18
	;; [unrolled: 1-line block ×4, first 2 shown]
	s_delay_alu instid0(VALU_DEP_4) | instskip(NEXT) | instid1(VALU_DEP_4)
	v_fma_f16 v60, v60, v56, -v66
	v_fma_f16 v11, v11, v13, -v19
	s_delay_alu instid0(VALU_DEP_4) | instskip(SKIP_2) | instid1(VALU_DEP_3)
	v_fmac_f16_e32 v18, v17, v13
	v_lshrrev_b32_e32 v13, 16, v54
	v_fmac_f16_e32 v62, v61, v56
	v_pack_b32_f16 v11, v11, v18
	ds_store_b32 v26, v11
	ds_load_2addr_b32 v[17:18], v26 offset0:22 offset1:33
	ds_load_2addr_b32 v[19:20], v26 offset0:44 offset1:55
	v_lshrrev_b32_e32 v11, 16, v12
	s_delay_alu instid0(VALU_DEP_1) | instskip(SKIP_1) | instid1(VALU_DEP_2)
	v_mul_f16_e32 v64, v11, v13
	v_mul_f16_e32 v13, v12, v13
	v_fma_f16 v12, v12, v54, -v64
	s_delay_alu instid0(VALU_DEP_2)
	v_fmac_f16_e32 v13, v11, v54
	s_wait_loadcnt 0x1
	v_lshrrev_b32_e32 v11, 16, v59
	s_wait_loadcnt 0x0
	v_lshrrev_b32_e32 v54, 16, v40
	v_pack_b32_f16 v12, v12, v13
	s_wait_dscnt 0x1
	v_lshrrev_b32_e32 v13, 16, v17
	v_mul_f16_e32 v56, v17, v63
	v_lshrrev_b32_e32 v61, 16, v18
	s_wait_dscnt 0x0
	v_lshrrev_b32_e32 v66, 16, v19
	v_lshrrev_b32_e32 v68, 16, v20
	v_mul_f16_e32 v63, v13, v63
	v_mul_f16_e32 v64, v18, v65
	;; [unrolled: 1-line block ×3, first 2 shown]
	v_fmac_f16_e32 v56, v13, v57
	v_mul_f16_e32 v13, v61, v65
	v_mul_f16_e32 v11, v66, v11
	;; [unrolled: 1-line block ×4, first 2 shown]
	v_fma_f16 v17, v17, v57, -v63
	v_fmac_f16_e32 v64, v61, v58
	v_fmac_f16_e32 v67, v66, v59
	v_fma_f16 v13, v18, v58, -v13
	v_fma_f16 v11, v19, v59, -v11
	v_fmac_f16_e32 v69, v68, v40
	v_fma_f16 v18, v20, v40, -v54
	v_pack_b32_f16 v17, v17, v56
	v_pack_b32_f16 v13, v13, v64
	;; [unrolled: 1-line block ×5, first 2 shown]
	ds_store_2addr_b32 v26, v12, v17 offset0:11 offset1:22
	ds_store_2addr_b32 v26, v13, v11 offset0:33 offset1:44
	;; [unrolled: 1-line block ×3, first 2 shown]
	global_wb scope:SCOPE_SE
	s_wait_dscnt 0x0
	s_barrier_signal -1
	s_barrier_wait -1
	global_inv scope:SCOPE_SE
	ds_load_2addr_b32 v[11:12], v26 offset1:11
	ds_load_2addr_b32 v[17:18], v26 offset0:22 offset1:33
	ds_load_b32 v13, v26 offset:264
	ds_load_2addr_b32 v[19:20], v26 offset0:44 offset1:55
	global_wb scope:SCOPE_SE
	s_wait_dscnt 0x0
	s_barrier_signal -1
	s_barrier_wait -1
	global_inv scope:SCOPE_SE
	v_pk_add_f16 v40, v12, v13
	v_pk_add_f16 v54, v17, v20
	v_pk_add_f16 v17, v17, v20 neg_lo:[0,1] neg_hi:[0,1]
	v_pk_add_f16 v20, v18, v19
	v_pk_add_f16 v18, v19, v18 neg_lo:[0,1] neg_hi:[0,1]
	v_pk_add_f16 v12, v12, v13 neg_lo:[0,1] neg_hi:[0,1]
	v_pk_add_f16 v13, v54, v40
	v_pk_add_f16 v19, v54, v40 neg_lo:[0,1] neg_hi:[0,1]
	v_pk_add_f16 v40, v40, v20 neg_lo:[0,1] neg_hi:[0,1]
	v_pk_add_f16 v56, v18, v17 op_sel:[1,1] op_sel_hi:[0,0]
	v_pk_add_f16 v57, v12, v18 op_sel:[1,1] op_sel_hi:[0,0] neg_lo:[0,1] neg_hi:[0,1]
	v_pk_add_f16 v58, v17, v12 op_sel:[1,1] op_sel_hi:[0,0] neg_lo:[0,1] neg_hi:[0,1]
	v_pk_add_f16 v13, v20, v13
	v_pk_add_f16 v54, v20, v54 neg_lo:[0,1] neg_hi:[0,1]
	v_pk_add_f16 v17, v18, v17 op_sel:[1,1] op_sel_hi:[0,0] neg_lo:[0,1] neg_hi:[0,1]
	v_pk_add_f16 v12, v56, v12 op_sel:[0,1] op_sel_hi:[1,0]
	v_pk_mul_f16 v18, 0x3a52, v40 op_sel_hi:[0,1]
	v_pk_mul_f16 v20, 0xbb00, v58 op_sel_hi:[0,1]
	;; [unrolled: 1-line block ×3, first 2 shown]
	v_pk_add_f16 v11, v13, v11
	v_pk_mul_f16 v56, 0xb574, v57 op_sel_hi:[0,1]
	v_pk_fma_f16 v19, 0x39e0, v19, v18 op_sel_hi:[0,1,1] neg_lo:[0,1,1] neg_hi:[0,1,1]
	v_pk_fma_f16 v57, 0xb574, v57, v20 op_sel_hi:[0,1,1] neg_lo:[0,1,1] neg_hi:[0,1,1]
	;; [unrolled: 1-line block ×3, first 2 shown]
	v_pk_fma_f16 v13, 0xbcab, v13, v11 op_sel_hi:[0,1,1]
	v_pk_fma_f16 v20, 0x3846, v17, v20 op_sel_hi:[0,1,1] neg_lo:[0,1,0] neg_hi:[0,1,0]
	v_pk_fma_f16 v18, 0x2b26, v54, v18 op_sel_hi:[0,1,1]
	v_pk_fma_f16 v17, 0x3846, v17, v56 op_sel_hi:[0,1,1]
	;; [unrolled: 1-line block ×3, first 2 shown]
	v_pk_add_f16 v56, v19, v13
	v_pk_fma_f16 v57, 0xb70e, v12, v20 op_sel_hi:[0,1,1]
	v_pk_add_f16 v40, v40, v13
	v_pk_fma_f16 v58, 0xb70e, v12, v17 op_sel_hi:[0,1,1]
	v_pk_add_f16 v13, v18, v13
	v_pk_add_f16 v19, v56, v54
	v_pk_add_f16 v18, v56, v54 neg_lo:[0,1] neg_hi:[0,1]
	v_pk_add_f16 v20, v40, v57 neg_lo:[0,1] neg_hi:[0,1]
	v_pk_add_f16 v17, v40, v57
	v_pk_add_f16 v12, v13, v58
	v_pk_add_f16 v13, v13, v58 neg_lo:[0,1] neg_hi:[0,1]
	v_lshrrev_b32_e32 v60, 16, v18
	v_lshrrev_b32_e32 v57, 16, v20
	v_bfi_b32 v61, 0xffff, v20, v17
	v_lshrrev_b32_e32 v58, 16, v17
	v_lshrrev_b32_e32 v59, 16, v13
	;; [unrolled: 1-line block ×4, first 2 shown]
	v_bfi_b32 v40, 0xffff, v19, v18
	v_bfi_b32 v65, 0xffff, v12, v13
	;; [unrolled: 1-line block ×5, first 2 shown]
	ds_store_2addr_b32 v41, v11, v61 offset1:3
	ds_store_2addr_b32 v41, v65, v40 offset0:1 offset1:2
	ds_store_2addr_b32 v41, v63, v62 offset0:4 offset1:5
	ds_store_b32 v41, v64 offset:24
	global_wb scope:SCOPE_SE
	s_wait_dscnt 0x0
	s_barrier_signal -1
	s_barrier_wait -1
	global_inv scope:SCOPE_SE
	s_and_saveexec_b32 s0, vcc_lo
	s_cbranch_execz .LBB0_7
; %bb.6:
	ds_load_2addr_b32 v[11:12], v26 offset1:7
	ds_load_2addr_b32 v[19:20], v26 offset0:14 offset1:21
	ds_load_2addr_b32 v[17:18], v26 offset0:28 offset1:35
	;; [unrolled: 1-line block ×4, first 2 shown]
	ds_load_b32 v52, v26 offset:280
	s_wait_dscnt 0x5
	v_lshrrev_b32_e32 v59, 16, v12
	s_wait_dscnt 0x4
	v_lshrrev_b32_e32 v60, 16, v19
	v_lshrrev_b32_e32 v58, 16, v20
	s_wait_dscnt 0x3
	v_lshrrev_b32_e32 v57, 16, v17
	;; [unrolled: 3-line block ×5, first 2 shown]
.LBB0_7:
	s_wait_alu 0xfffe
	s_or_b32 exec_lo, exec_lo, s0
	s_and_saveexec_b32 s0, vcc_lo
	s_cbranch_execz .LBB0_9
; %bb.8:
	v_mul_f16_e32 v40, v51, v52
	v_mul_f16_e32 v41, v50, v12
	;; [unrolled: 1-line block ×4, first 2 shown]
	s_delay_alu instid0(VALU_DEP_4) | instskip(NEXT) | instid1(VALU_DEP_4)
	v_fma_f16 v40, v10, v55, -v40
	v_fma_f16 v63, v4, v59, -v41
	v_mul_f16_e32 v59, v50, v59
	v_mul_f16_e32 v41, v51, v55
	v_fma_f16 v51, v5, v60, -v62
	v_mul_f16_e32 v60, v48, v60
	v_add_f16_e32 v55, v40, v63
	v_mul_f16_e32 v48, v49, v53
	v_fmac_f16_e32 v59, v4, v12
	v_fmac_f16_e32 v41, v10, v52
	v_fma_f16 v50, v9, v53, -v61
	v_fmac_f16_e32 v60, v5, v19
	v_fmac_f16_e32 v48, v9, v16
	v_mul_f16_e32 v16, 0xbbad, v55
	v_sub_f16_e32 v9, v59, v41
	v_add_f16_e32 v12, v50, v51
	v_lshrrev_b32_e32 v5, 16, v11
	v_mul_f16_e32 v52, v47, v15
	v_mul_f16_e32 v53, v46, v20
	v_fmamk_f16 v10, v9, 0x3482, v16
	v_mul_f16_e32 v19, 0x3abb, v12
	v_sub_f16_e32 v4, v60, v48
	v_mul_f16_e32 v46, v46, v58
	v_sub_f16_e32 v64, v51, v50
	v_add_f16_e32 v61, v10, v5
	v_fma_f16 v10, v3, v22, -v52
	v_fma_f16 v52, v6, v58, -v53
	v_mul_f16_e32 v53, v44, v17
	v_fmamk_f16 v49, v4, 0xb853, v19
	v_mul_f16_e32 v22, v47, v22
	v_mul_f16_e32 v47, v45, v14
	v_fmac_f16_e32 v46, v6, v20
	v_fma_f16 v6, v7, v57, -v53
	v_mul_f16_e32 v20, v45, v21
	v_sub_f16_e32 v53, v63, v40
	v_add_f16_e32 v49, v49, v61
	v_fmac_f16_e32 v22, v3, v15
	v_fma_f16 v3, v2, v21, -v47
	v_mul_f16_e32 v15, v44, v57
	v_fmac_f16_e32 v20, v2, v14
	v_mul_f16_e32 v2, v43, v13
	v_mul_f16_e32 v14, v42, v18
	v_add_f16_e32 v57, v41, v59
	v_mul_f16_e32 v61, 0xb482, v53
	v_mul_f16_e32 v42, v42, v56
	v_fma_f16 v2, v1, v54, -v2
	v_fma_f16 v14, v0, v56, -v14
	v_mul_f16_e32 v43, v43, v54
	v_fmamk_f16 v54, v57, 0xbbad, v61
	v_add_f16_e32 v56, v48, v60
	v_mul_f16_e32 v65, 0x3853, v64
	v_fmac_f16_e32 v42, v0, v18
	v_sub_f16_e32 v0, v52, v10
	v_add_f16_e32 v58, v10, v52
	v_fmac_f16_e32 v15, v7, v17
	v_fmac_f16_e32 v43, v1, v13
	v_add_f16_e32 v1, v54, v11
	v_fmamk_f16 v13, v56, 0x3abb, v65
	v_add_f16_e32 v18, v22, v46
	v_mul_f16_e32 v54, 0xba0c, v0
	v_sub_f16_e32 v67, v6, v3
	v_mul_f16_e32 v21, 0xb93d, v58
	v_sub_f16_e32 v44, v46, v22
	v_add_f16_e32 v45, v3, v6
	v_add_f16_e32 v1, v13, v1
	v_fmamk_f16 v13, v18, 0xb93d, v54
	v_add_f16_e32 v69, v20, v15
	v_mul_f16_e32 v70, 0x3b47, v67
	v_fmamk_f16 v7, v44, 0x3a0c, v21
	v_mul_f16_e32 v17, 0x36a6, v45
	v_sub_f16_e32 v47, v15, v20
	v_add_f16_e32 v62, v2, v14
	v_add_f16_e32 v1, v13, v1
	v_fmamk_f16 v13, v69, 0x36a6, v70
	v_mul_f16_e32 v71, 0xb93d, v55
	v_add_f16_e32 v7, v7, v49
	v_fmamk_f16 v49, v47, 0xbb47, v17
	v_mul_f16_e32 v66, 0xb08e, v62
	v_sub_f16_e32 v68, v42, v43
	v_add_f16_e32 v1, v13, v1
	v_fmamk_f16 v13, v9, 0x3a0c, v71
	v_mul_f16_e32 v72, 0xb08e, v12
	v_add_f16_e32 v7, v49, v7
	v_fmamk_f16 v49, v68, 0x3beb, v66
	v_mul_f16_e32 v77, 0x3abb, v58
	;; [unrolled: 3-line block ×3, first 2 shown]
	v_add_f16_e32 v7, v49, v7
	v_sub_f16_e32 v49, v14, v2
	v_add_f16_e32 v73, v43, v42
	v_add_f16_e32 v13, v76, v13
	v_fmamk_f16 v76, v44, 0x3853, v77
	v_mul_f16_e32 v75, 0xba0c, v53
	v_mul_f16_e32 v74, 0xbbeb, v49
	;; [unrolled: 1-line block ×4, first 2 shown]
	v_add_f16_e32 v13, v76, v13
	v_fmamk_f16 v76, v47, 0x3482, v81
	v_fmamk_f16 v78, v73, 0xb08e, v74
	;; [unrolled: 1-line block ×3, first 2 shown]
	v_mul_f16_e32 v86, 0xb08e, v55
	v_fmamk_f16 v82, v56, 0xb08e, v80
	v_add_f16_e32 v13, v76, v13
	v_fmamk_f16 v76, v68, 0xbb47, v84
	v_add_f16_e32 v79, v79, v11
	v_mul_f16_e32 v83, 0xb853, v0
	v_add_f16_e32 v1, v78, v1
	v_mul_f16_e32 v78, 0xbbad, v12
	v_add_f16_e32 v13, v76, v13
	v_fmamk_f16 v76, v9, 0x3beb, v86
	v_fmac_f16_e32 v16, 0xb482, v9
	v_fma_f16 v61, v57, 0xbbad, -v61
	v_add_f16_e32 v79, v82, v79
	v_fmamk_f16 v82, v18, 0x3abb, v83
	v_mul_f16_e32 v85, 0xb482, v67
	v_add_f16_e32 v76, v76, v5
	v_fmamk_f16 v88, v4, 0xb482, v78
	v_mul_f16_e32 v89, 0x36a6, v58
	v_add_f16_e32 v16, v16, v5
	v_fmac_f16_e32 v19, 0x3853, v4
	v_add_f16_e32 v61, v61, v11
	v_fma_f16 v65, v56, 0x3abb, -v65
	v_add_f16_e32 v79, v82, v79
	v_fmamk_f16 v82, v69, 0xbbad, v85
	v_mul_f16_e32 v87, 0xbbeb, v53
	v_add_f16_e32 v76, v88, v76
	v_fmamk_f16 v88, v44, 0xbb47, v89
	v_mul_f16_e32 v93, 0x3abb, v45
	v_add_f16_e32 v16, v19, v16
	v_fmac_f16_e32 v21, 0xba0c, v44
	v_add_f16_e32 v19, v65, v61
	v_fma_f16 v54, v18, 0xb93d, -v54
	v_add_f16_e32 v79, v82, v79
	v_mul_f16_e32 v82, 0x3b47, v49
	v_fmamk_f16 v91, v57, 0xb08e, v87
	v_mul_f16_e32 v92, 0x3482, v64
	v_add_f16_e32 v76, v88, v76
	v_fmamk_f16 v88, v47, 0x3853, v93
	v_mul_f16_e32 v96, 0xb93d, v62
	v_add_f16_e32 v16, v21, v16
	v_fmac_f16_e32 v17, 0x3b47, v47
	v_add_f16_e32 v19, v54, v19
	v_fma_f16 v21, v69, 0x36a6, -v70
	v_fmamk_f16 v90, v73, 0x36a6, v82
	v_add_f16_e32 v91, v91, v11
	v_fmamk_f16 v94, v56, 0xbbad, v92
	v_mul_f16_e32 v95, 0x3b47, v0
	v_add_f16_e32 v76, v88, v76
	v_fmamk_f16 v88, v68, 0x3a0c, v96
	v_mul_f16_e32 v98, 0x36a6, v55
	v_add_f16_e32 v63, v63, v5
	v_add_f16_e32 v59, v59, v11
	v_fmac_f16_e32 v71, 0xba0c, v9
	v_add_f16_e32 v16, v17, v16
	v_add_f16_e32 v17, v21, v19
	v_fma_f16 v19, v73, 0xb08e, -v74
	v_add_f16_e32 v91, v94, v91
	v_fmamk_f16 v94, v18, 0x36a6, v95
	v_mul_f16_e32 v97, 0xb853, v67
	v_add_f16_e32 v79, v90, v79
	v_add_f16_e32 v76, v88, v76
	v_fmamk_f16 v88, v9, 0x3b47, v98
	v_mul_f16_e32 v90, 0xb93d, v12
	v_mul_f16_e32 v99, 0xbb47, v53
	v_add_f16_e32 v51, v51, v63
	v_add_f16_e32 v59, v60, v59
	;; [unrolled: 1-line block ×3, first 2 shown]
	v_fmac_f16_e32 v72, 0x3beb, v4
	v_fmac_f16_e32 v66, 0xbbeb, v68
	v_add_f16_e32 v17, v19, v17
	v_fma_f16 v19, v57, 0xb93d, -v75
	v_fmac_f16_e32 v86, 0xbbeb, v9
	v_add_f16_e32 v91, v94, v91
	v_fmamk_f16 v94, v69, 0x3abb, v97
	v_add_f16_e32 v88, v88, v5
	v_fmamk_f16 v100, v4, 0x3a0c, v90
	v_mul_f16_e32 v101, 0xbbad, v58
	v_fmamk_f16 v103, v57, 0x36a6, v99
	v_mul_f16_e32 v104, 0xba0c, v64
	v_add_f16_e32 v51, v52, v51
	v_add_f16_e32 v46, v46, v59
	;; [unrolled: 1-line block ×4, first 2 shown]
	v_fma_f16 v61, v57, 0xb08e, -v87
	v_add_f16_e32 v19, v19, v11
	v_fma_f16 v65, v56, 0xb08e, -v80
	v_add_f16_e32 v66, v86, v5
	v_fmac_f16_e32 v78, 0x3482, v4
	v_add_f16_e32 v91, v94, v91
	v_mul_f16_e32 v94, 0xba0c, v49
	v_add_f16_e32 v88, v100, v88
	v_fmamk_f16 v100, v44, 0xb482, v101
	v_mul_f16_e32 v105, 0xb08e, v45
	v_add_f16_e32 v103, v103, v11
	v_fmamk_f16 v106, v56, 0xb93d, v104
	v_mul_f16_e32 v107, 0x3482, v0
	v_add_f16_e32 v6, v6, v51
	v_add_f16_e32 v15, v15, v46
	;; [unrolled: 1-line block ×3, first 2 shown]
	v_fma_f16 v70, v56, 0xbbad, -v92
	v_add_f16_e32 v19, v65, v19
	v_fma_f16 v65, v18, 0x3abb, -v83
	v_add_f16_e32 v66, v78, v66
	v_fmac_f16_e32 v89, 0x3b47, v44
	v_fmamk_f16 v102, v73, 0xb93d, v94
	v_add_f16_e32 v88, v100, v88
	v_fmamk_f16 v100, v47, 0xbbeb, v105
	v_mul_f16_e32 v108, 0x3abb, v62
	v_add_f16_e32 v103, v106, v103
	v_fmamk_f16 v106, v18, 0xbbad, v107
	v_mul_f16_e32 v109, 0x3beb, v67
	v_mul_f16_e32 v55, 0x3abb, v55
	v_add_f16_e32 v6, v14, v6
	v_add_f16_e32 v14, v42, v15
	;; [unrolled: 1-line block ×3, first 2 shown]
	v_fma_f16 v70, v18, 0x36a6, -v95
	v_add_f16_e32 v19, v65, v19
	v_fma_f16 v65, v69, 0xbbad, -v85
	v_add_f16_e32 v66, v89, v66
	v_fmac_f16_e32 v93, 0xb853, v47
	v_add_f16_e32 v88, v100, v88
	v_fmamk_f16 v100, v68, 0xb853, v108
	v_add_f16_e32 v103, v106, v103
	v_fmamk_f16 v106, v69, 0xb08e, v109
	;; [unrolled: 2-line block ×3, first 2 shown]
	v_mul_f16_e32 v12, 0x36a6, v12
	v_mul_f16_e32 v53, 0xb853, v53
	v_add_f16_e32 v2, v2, v6
	v_add_f16_e32 v6, v43, v14
	;; [unrolled: 1-line block ×3, first 2 shown]
	v_fma_f16 v70, v69, 0x3abb, -v97
	v_add_f16_e32 v19, v65, v19
	v_fma_f16 v65, v73, 0x36a6, -v82
	v_add_f16_e32 v66, v93, v66
	v_fmac_f16_e32 v96, 0xba0c, v68
	v_add_f16_e32 v88, v100, v88
	v_add_f16_e32 v100, v106, v103
	;; [unrolled: 1-line block ×3, first 2 shown]
	v_fmamk_f16 v103, v4, 0x3b47, v12
	v_mul_f16_e32 v58, 0xb08e, v58
	v_fmamk_f16 v110, v57, 0x3abb, v53
	v_mul_f16_e32 v64, 0xbb47, v64
	v_add_f16_e32 v2, v3, v2
	v_add_f16_e32 v3, v20, v6
	;; [unrolled: 1-line block ×3, first 2 shown]
	v_fma_f16 v70, v73, 0xb93d, -v94
	v_add_f16_e32 v19, v65, v19
	v_add_f16_e32 v65, v96, v66
	v_fmac_f16_e32 v98, 0xbb47, v9
	v_fma_f16 v66, v57, 0x36a6, -v99
	v_fmac_f16_e32 v55, 0xb853, v9
	v_fma_f16 v14, v57, 0x3abb, -v53
	v_add_f16_e32 v102, v103, v102
	v_fmamk_f16 v103, v44, 0x3beb, v58
	v_mul_f16_e32 v45, 0xb93d, v45
	v_add_f16_e32 v110, v110, v11
	v_fmamk_f16 v111, v56, 0x36a6, v64
	v_mul_f16_e32 v0, 0xbbeb, v0
	v_add_f16_e32 v2, v10, v2
	v_add_f16_e32 v3, v22, v3
	;; [unrolled: 1-line block ×4, first 2 shown]
	v_fmac_f16_e32 v90, 0xba0c, v4
	v_add_f16_e32 v66, v66, v11
	v_fma_f16 v60, v56, 0xb93d, -v104
	v_add_f16_e32 v5, v55, v5
	v_fmac_f16_e32 v12, 0xbb47, v4
	v_add_f16_e32 v4, v14, v11
	v_fma_f16 v6, v56, 0x36a6, -v64
	v_add_f16_e32 v102, v103, v102
	v_fmamk_f16 v103, v47, 0x3a0c, v45
	v_mul_f16_e32 v62, 0xbbad, v62
	v_add_f16_e32 v110, v111, v110
	v_fmamk_f16 v111, v18, 0xb08e, v0
	v_mul_f16_e32 v67, 0xba0c, v67
	v_add_f16_e32 v2, v50, v2
	v_add_f16_e32 v3, v48, v3
	v_fmac_f16_e32 v77, 0xb853, v44
	v_add_f16_e32 v63, v90, v70
	v_fmac_f16_e32 v101, 0x3482, v44
	v_add_f16_e32 v52, v60, v66
	v_fma_f16 v59, v18, 0xbbad, -v107
	v_add_f16_e32 v5, v12, v5
	v_fmac_f16_e32 v58, 0xbbeb, v44
	v_add_f16_e32 v4, v6, v4
	v_fma_f16 v0, v18, 0xb08e, -v0
	v_mul_f16_e32 v106, 0x3853, v49
	v_add_f16_e32 v102, v103, v102
	v_fmamk_f16 v103, v68, 0x3482, v62
	v_add_f16_e32 v110, v111, v110
	v_fmamk_f16 v111, v69, 0xb93d, v67
	v_mul_f16_e32 v49, 0xb482, v49
	v_add_f16_e32 v2, v40, v2
	v_add_f16_e32 v3, v41, v3
	;; [unrolled: 1-line block ×3, first 2 shown]
	v_fmac_f16_e32 v81, 0xb482, v47
	v_add_f16_e32 v60, v101, v63
	v_fmac_f16_e32 v105, 0x3beb, v47
	v_add_f16_e32 v46, v59, v52
	v_fma_f16 v51, v69, 0xb08e, -v109
	v_add_f16_e32 v5, v58, v5
	v_fmac_f16_e32 v45, 0xba0c, v47
	v_add_f16_e32 v0, v0, v4
	v_fma_f16 v4, v69, 0xb93d, -v67
	v_fmamk_f16 v112, v73, 0x3abb, v106
	v_add_f16_e32 v102, v103, v102
	v_add_f16_e32 v103, v111, v110
	v_fmamk_f16 v110, v73, 0xbbad, v49
	v_lshlrev_b32_e32 v2, 16, v2
	v_and_b32_e32 v3, 0xffff, v3
	v_add_f16_e32 v21, v81, v21
	v_fmac_f16_e32 v84, 0x3b47, v68
	v_add_f16_e32 v15, v105, v60
	v_fmac_f16_e32 v108, 0x3853, v68
	v_add_f16_e32 v42, v51, v46
	v_fma_f16 v9, v73, 0x3abb, -v106
	v_add_f16_e32 v5, v45, v5
	v_fmac_f16_e32 v62, 0xb482, v68
	v_add_f16_e32 v0, v4, v0
	v_fma_f16 v4, v73, 0xbbad, -v49
	v_add_f16_e32 v100, v112, v100
	v_add_f16_e32 v54, v110, v103
	v_or_b32_e32 v2, v2, v3
	v_add_f16_e32 v21, v84, v21
	v_add_f16_e32 v3, v108, v15
	;; [unrolled: 1-line block ×5, first 2 shown]
	ds_store_b32 v26, v2
	v_lshl_add_u32 v2, v32, 2, v39
	v_pack_b32_f16 v4, v54, v102
	v_pack_b32_f16 v9, v100, v88
	;; [unrolled: 1-line block ×10, first 2 shown]
	ds_store_2addr_b32 v2, v4, v9 offset0:7 offset1:14
	ds_store_2addr_b32 v2, v10, v11 offset0:21 offset1:28
	;; [unrolled: 1-line block ×5, first 2 shown]
.LBB0_9:
	s_wait_alu 0xfffe
	s_or_b32 exec_lo, exec_lo, s0
	global_wb scope:SCOPE_SE
	s_wait_dscnt 0x0
	s_barrier_signal -1
	s_barrier_wait -1
	global_inv scope:SCOPE_SE
	ds_load_2addr_b32 v[0:1], v26 offset1:11
	ds_load_2addr_b32 v[2:3], v26 offset0:22 offset1:33
	s_mov_b32 s8, 0x606a63be
	s_mov_b32 s9, 0x3f8a98ef
	v_mad_co_u64_u32 v[17:18], null, s4, v32, 0
	s_wait_dscnt 0x1
	v_lshrrev_b32_e32 v4, 16, v0
	v_mul_f16_e32 v5, v38, v0
	v_lshrrev_b32_e32 v6, 16, v1
	v_mul_f16_e32 v7, v37, v1
	s_wait_dscnt 0x0
	v_lshrrev_b32_e32 v13, 16, v2
	v_mul_f16_e32 v9, v38, v4
	v_fma_f16 v5, v35, v4, -v5
	v_mul_f16_e32 v10, v37, v6
	v_fma_f16 v4, v34, v6, -v7
	v_mul_f16_e32 v11, v36, v13
	v_fmac_f16_e32 v9, v35, v0
	v_cvt_f32_f16_e32 v5, v5
	v_fmac_f16_e32 v10, v34, v1
	v_cvt_f32_f16_e32 v0, v4
	;; [unrolled: 2-line block ×3, first 2 shown]
	v_cvt_f64_f32_e32 v[4:5], v5
	v_mul_f16_e32 v2, v36, v2
	v_cvt_f64_f32_e32 v[6:7], v0
	v_cvt_f32_f16_e32 v11, v11
	v_cvt_f64_f32_e32 v[0:1], v9
	v_cvt_f32_f16_e32 v9, v10
	v_fma_f16 v2, v33, v13, -v2
	v_mad_co_u64_u32 v[13:14], null, s6, v8, 0
	v_cvt_f64_f32_e32 v[11:12], v11
	s_delay_alu instid0(VALU_DEP_4) | instskip(NEXT) | instid1(VALU_DEP_4)
	v_cvt_f64_f32_e32 v[9:10], v9
	v_cvt_f32_f16_e32 v2, v2
	v_lshrrev_b32_e32 v22, 16, v3
	s_delay_alu instid0(VALU_DEP_2) | instskip(SKIP_1) | instid1(VALU_DEP_1)
	v_cvt_f64_f32_e32 v[15:16], v2
	v_mov_b32_e32 v2, v14
	v_mad_co_u64_u32 v[19:20], null, s7, v8, v[2:3]
	v_mov_b32_e32 v2, v18
	s_delay_alu instid0(VALU_DEP_1) | instskip(SKIP_1) | instid1(VALU_DEP_4)
	v_mad_co_u64_u32 v[20:21], null, s5, v32, v[2:3]
	v_mul_f16_e32 v2, v31, v22
	v_mov_b32_e32 v14, v19
	s_delay_alu instid0(VALU_DEP_2) | instskip(NEXT) | instid1(VALU_DEP_4)
	v_fmac_f16_e32 v2, v30, v3
	v_mov_b32_e32 v18, v20
	s_wait_alu 0xfffe
	v_mul_f64_e32 v[4:5], s[8:9], v[4:5]
	v_mul_f64_e32 v[6:7], s[8:9], v[6:7]
	v_cvt_f32_f16_e32 v2, v2
	v_mul_f64_e32 v[0:1], s[8:9], v[0:1]
	v_mul_f64_e32 v[8:9], s[8:9], v[9:10]
	;; [unrolled: 1-line block ×3, first 2 shown]
	v_lshlrev_b64_e32 v[12:13], 2, v[13:14]
	v_mul_f64_e32 v[14:15], s[8:9], v[15:16]
	s_delay_alu instid0(VALU_DEP_2) | instskip(SKIP_1) | instid1(VALU_DEP_3)
	v_add_co_u32 v19, vcc_lo, s2, v12
	s_wait_alu 0xfffd
	v_add_co_ci_u32_e32 v20, vcc_lo, s3, v13, vcc_lo
	v_cvt_f64_f32_e32 v[12:13], v2
	v_and_or_b32 v2, 0x1ff, v5, v4
	v_bfe_u32 v16, v5, 20, 11
	v_and_or_b32 v6, 0x1ff, v7, v6
	v_lshrrev_b32_e32 v4, 8, v5
	v_and_or_b32 v0, 0x1ff, v1, v0
	v_cmp_ne_u32_e32 vcc_lo, 0, v2
	v_sub_nc_u32_e32 v35, 0x3f1, v16
	v_lshrrev_b32_e32 v33, 8, v1
	v_bfe_u32 v34, v1, 20, 11
	v_lshrrev_b32_e32 v21, 8, v7
	s_wait_alu 0xfffd
	v_cndmask_b32_e64 v2, 0, 1, vcc_lo
	v_cmp_ne_u32_e32 vcc_lo, 0, v6
	v_and_or_b32 v8, 0x1ff, v9, v8
	v_lshrrev_b32_e32 v36, 8, v9
	v_bfe_u32 v37, v9, 20, 11
	v_and_or_b32 v10, 0x1ff, v11, v10
	s_wait_alu 0xfffd
	v_cndmask_b32_e64 v6, 0, 1, vcc_lo
	v_cmp_ne_u32_e32 vcc_lo, 0, v0
	v_and_or_b32 v2, 0xffe, v4, v2
	v_med3_i32 v4, v35, 0, 13
	v_sub_nc_u32_e32 v35, 0x3f1, v37
	v_add_nc_u32_e32 v37, 0xfffffc10, v37
	s_wait_alu 0xfffd
	v_cndmask_b32_e64 v0, 0, 1, vcc_lo
	v_cmp_ne_u32_e32 vcc_lo, 0, v8
	v_bfe_u32 v32, v7, 20, 11
	v_sub_nc_u32_e32 v41, 0x3f1, v34
	v_and_or_b32 v6, 0xffe, v21, v6
	v_and_or_b32 v0, 0xffe, v33, v0
	s_wait_alu 0xfffd
	v_cndmask_b32_e64 v8, 0, 1, vcc_lo
	v_cmp_ne_u32_e32 vcc_lo, 0, v10
	v_sub_nc_u32_e32 v38, 0x3f1, v32
	v_med3_i32 v33, v41, 0, 13
	v_or_b32_e32 v41, 0x1000, v2
	v_and_or_b32 v8, 0xffe, v36, v8
	s_wait_alu 0xfffd
	v_cndmask_b32_e64 v10, 0, 1, vcc_lo
	v_cmp_ne_u32_e32 vcc_lo, 0, v2
	v_lshrrev_b32_e32 v39, 8, v11
	v_med3_i32 v21, v38, 0, 13
	v_lshl_or_b32 v47, v37, 12, v8
	v_add_nc_u32_e32 v34, 0xfffffc10, v34
	v_or_b32_e32 v36, 0x1000, v6
	v_lshrrev_b32_e32 v45, v4, v41
	v_and_or_b32 v10, 0xffe, v39, v10
	v_or_b32_e32 v39, 0x1000, v0
	v_lshl_or_b32 v44, v34, 12, v0
	v_add_nc_u32_e32 v16, 0xfffffc10, v16
	v_lshrrev_b32_e32 v48, v21, v36
	v_lshlrev_b32_e32 v4, v4, v45
	v_med3_i32 v35, v35, 0, 13
	v_or_b32_e32 v46, 0x1000, v8
	v_lshl_or_b32 v42, v16, 12, v2
	s_wait_alu 0xfffd
	v_cndmask_b32_e64 v2, 0, 1, vcc_lo
	v_cmp_ne_u32_e32 vcc_lo, 0, v0
	v_lshrrev_b32_e32 v50, v33, v39
	v_lshlrev_b32_e32 v21, v21, v48
	v_lshrrev_b32_e32 v51, v35, v46
	v_lshrrev_b32_e32 v1, 16, v1
	s_wait_alu 0xfffd
	v_cndmask_b32_e64 v0, 0, 1, vcc_lo
	v_cmp_ne_u32_e32 vcc_lo, 0, v8
	v_lshlrev_b32_e32 v33, v33, v50
	v_lshlrev_b32_e32 v35, v35, v51
	v_lshl_or_b32 v2, v2, 9, 0x7c00
	v_lshl_or_b32 v0, v0, 9, 0x7c00
	s_wait_alu 0xfffd
	v_cndmask_b32_e64 v8, 0, 1, vcc_lo
	v_cmp_ne_u32_e32 vcc_lo, v4, v41
	v_lshrrev_b32_e32 v5, 16, v5
	v_bfe_u32 v40, v11, 20, 11
	v_or_b32_e32 v49, 0x1000, v10
	v_lshl_or_b32 v8, v8, 9, 0x7c00
	s_wait_alu 0xfffd
	v_cndmask_b32_e64 v4, 0, 1, vcc_lo
	v_cmp_ne_u32_e32 vcc_lo, v21, v36
	v_sub_nc_u32_e32 v38, 0x3f1, v40
	v_lshrrev_b32_e32 v11, 16, v11
	s_delay_alu instid0(VALU_DEP_4) | instskip(SKIP_4) | instid1(VALU_DEP_3)
	v_or_b32_e32 v4, v45, v4
	s_wait_alu 0xfffd
	v_cndmask_b32_e64 v21, 0, 1, vcc_lo
	v_cmp_ne_u32_e32 vcc_lo, v33, v39
	v_med3_i32 v38, v38, 0, 13
	v_or_b32_e32 v21, v48, v21
	s_wait_alu 0xfffd
	v_cndmask_b32_e64 v33, 0, 1, vcc_lo
	v_cmp_ne_u32_e32 vcc_lo, v35, v46
	v_add_nc_u32_e32 v32, 0xfffffc10, v32
	s_delay_alu instid0(VALU_DEP_3) | instskip(SKIP_4) | instid1(VALU_DEP_3)
	v_or_b32_e32 v33, v50, v33
	s_wait_alu 0xfffd
	v_cndmask_b32_e64 v35, 0, 1, vcc_lo
	v_cmp_gt_i32_e32 vcc_lo, 1, v16
	v_lshl_or_b32 v43, v32, 12, v6
	v_or_b32_e32 v35, v51, v35
	s_wait_alu 0xfffd
	v_cndmask_b32_e32 v4, v42, v4, vcc_lo
	v_cmp_gt_i32_e32 vcc_lo, 1, v34
	s_wait_alu 0xfffd
	v_cndmask_b32_e32 v33, v44, v33, vcc_lo
	v_cmp_gt_i32_e32 vcc_lo, 1, v32
	s_delay_alu instid0(VALU_DEP_2)
	v_and_b32_e32 v39, 7, v33
	s_wait_alu 0xfffd
	v_cndmask_b32_e32 v21, v43, v21, vcc_lo
	v_cmp_gt_i32_e32 vcc_lo, 1, v37
	v_and_b32_e32 v36, 7, v4
	v_lshrrev_b32_e32 v33, 2, v33
	v_cmp_eq_u32_e64 s0, 3, v39
	v_lshrrev_b32_e32 v4, 2, v4
	s_wait_alu 0xfffd
	v_cndmask_b32_e32 v35, v47, v35, vcc_lo
	v_cmp_lt_i32_e32 vcc_lo, 5, v39
	v_cmp_lt_i32_e64 s1, 5, v36
	v_cmp_eq_u32_e64 s2, 3, v36
	s_delay_alu instid0(VALU_DEP_4)
	v_and_b32_e32 v36, 7, v35
	s_or_b32 vcc_lo, s0, vcc_lo
	v_cmp_gt_i32_e64 s0, 31, v34
	s_wait_alu 0xfffe
	v_add_co_ci_u32_e32 v33, vcc_lo, 0, v33, vcc_lo
	s_or_b32 vcc_lo, s2, s1
	v_cmp_gt_i32_e64 s1, 31, v16
	s_wait_alu 0xfffe
	v_add_co_ci_u32_e32 v4, vcc_lo, 0, v4, vcc_lo
	v_cmp_lt_i32_e32 vcc_lo, 5, v36
	v_cndmask_b32_e64 v33, 0x7c00, v33, s0
	v_cmp_eq_u32_e64 s0, 3, v36
	v_lshrrev_b32_e32 v35, 2, v35
	s_wait_alu 0xf1ff
	v_cndmask_b32_e64 v4, 0x7c00, v4, s1
	v_cmp_eq_u32_e64 s1, 0x40f, v34
	s_mul_u64 s[2:3], s[4:5], 44
	s_or_b32 vcc_lo, s0, vcc_lo
	v_cmp_gt_i32_e64 s0, 31, v37
	s_delay_alu instid0(VALU_DEP_2)
	v_cndmask_b32_e64 v0, v33, v0, s1
	s_wait_alu 0xfffe
	v_add_co_ci_u32_e32 v33, vcc_lo, 0, v35, vcc_lo
	v_cmp_eq_u32_e32 vcc_lo, 0x40f, v16
	v_and_b32_e32 v41, 7, v21
	v_and_or_b32 v0, 0x8000, v1, v0
	s_wait_alu 0xf1ff
	v_cndmask_b32_e64 v1, 0x7c00, v33, s0
	v_cmp_eq_u32_e64 s1, 0x40f, v37
	s_wait_alu 0xfffd
	v_cndmask_b32_e32 v2, v4, v2, vcc_lo
	v_cmp_lt_i32_e32 vcc_lo, 5, v41
	v_cmp_eq_u32_e64 s0, 3, v41
	v_and_b32_e32 v0, 0xffff, v0
	v_lshrrev_b32_e32 v4, 2, v21
	v_and_or_b32 v2, 0x8000, v5, v2
	s_wait_alu 0xf1ff
	v_cndmask_b32_e64 v1, v1, v8, s1
	s_or_b32 vcc_lo, s0, vcc_lo
	v_lshrrev_b32_e32 v5, v38, v49
	v_lshrrev_b32_e32 v21, 16, v7
	v_lshl_or_b32 v16, v2, 16, v0
	s_wait_alu 0xfffe
	v_add_co_ci_u32_e32 v0, vcc_lo, 0, v4, vcc_lo
	v_cmp_ne_u32_e32 vcc_lo, 0, v6
	v_lshrrev_b32_e32 v4, 16, v9
	s_wait_alu 0xfffd
	v_cndmask_b32_e64 v2, 0, 1, vcc_lo
	v_cmp_gt_i32_e32 vcc_lo, 31, v32
	s_delay_alu instid0(VALU_DEP_3)
	v_and_or_b32 v8, 0x8000, v4, v1
	v_mul_f16_e32 v1, v31, v3
	v_lshlrev_b32_e32 v3, v38, v5
	v_lshl_or_b32 v2, v2, 9, 0x7c00
	s_wait_alu 0xfffd
	v_cndmask_b32_e32 v0, 0x7c00, v0, vcc_lo
	v_cmp_eq_u32_e32 vcc_lo, 0x40f, v32
	v_lshrrev_b32_e32 v4, 8, v15
	s_wait_alu 0xfffd
	s_delay_alu instid0(VALU_DEP_3)
	v_dual_cndmask_b32 v9, v0, v2 :: v_dual_and_b32 v8, 0xffff, v8
	v_fma_f16 v0, v30, v22, -v1
	v_and_or_b32 v1, 0x1ff, v15, v14
	v_cmp_ne_u32_e32 vcc_lo, v3, v49
	v_add_nc_u32_e32 v14, 0xfffffc10, v40
	v_bfe_u32 v22, v15, 20, 11
	v_cvt_f32_f16_e32 v0, v0
	v_and_or_b32 v9, 0x8000, v21, v9
	s_wait_alu 0xfffd
	v_cndmask_b32_e64 v2, 0, 1, vcc_lo
	v_cmp_ne_u32_e32 vcc_lo, 0, v1
	v_lshl_or_b32 v6, v14, 12, v10
	v_cvt_f64_f32_e32 v[0:1], v0
	v_sub_nc_u32_e32 v7, 0x3f1, v22
	v_or_b32_e32 v5, v5, v2
	s_wait_alu 0xfffd
	v_cndmask_b32_e64 v3, 0, 1, vcc_lo
	v_cmp_gt_i32_e32 vcc_lo, 1, v14
	v_lshrrev_b32_e32 v15, 16, v15
	s_delay_alu instid0(VALU_DEP_3)
	v_and_or_b32 v30, 0xffe, v4, v3
	ds_load_2addr_b32 v[2:3], v26 offset0:44 offset1:55
	s_wait_alu 0xfffd
	v_cndmask_b32_e32 v31, v6, v5, vcc_lo
	v_mul_f64_e32 v[4:5], s[8:9], v[12:13]
	v_med3_i32 v12, v7, 0, 13
	v_or_b32_e32 v32, 0x1000, v30
	v_lshlrev_b64_e32 v[6:7], 2, v[17:18]
	v_and_b32_e32 v13, 7, v31
	v_lshl_or_b32 v18, v9, 16, v8
	v_lshrrev_b32_e32 v9, 2, v31
	v_lshrrev_b32_e32 v17, v12, v32
	v_add_co_u32 v6, vcc_lo, v19, v6
	s_wait_alu 0xfffd
	v_add_co_ci_u32_e32 v7, vcc_lo, v20, v7, vcc_lo
	s_delay_alu instid0(VALU_DEP_3)
	v_lshlrev_b32_e32 v8, v12, v17
	v_cmp_lt_i32_e32 vcc_lo, 5, v13
	v_cmp_eq_u32_e64 s0, 3, v13
	v_add_nc_u32_e32 v20, 0xfffffc10, v22
	s_wait_dscnt 0x0
	v_lshrrev_b32_e32 v19, 16, v2
	v_cmp_ne_u32_e64 s1, v8, v32
	s_or_b32 vcc_lo, s0, vcc_lo
	v_lshl_or_b32 v13, v20, 12, v30
	s_wait_alu 0xfffe
	v_add_co_ci_u32_e32 v9, vcc_lo, 0, v9, vcc_lo
	v_cndmask_b32_e64 v8, 0, 1, s1
	v_mul_f16_e32 v12, v29, v19
	v_cmp_ne_u32_e32 vcc_lo, 0, v10
	v_mul_f64_e32 v[0:1], s[8:9], v[0:1]
	s_delay_alu instid0(VALU_DEP_4) | instskip(NEXT) | instid1(VALU_DEP_4)
	v_or_b32_e32 v8, v17, v8
	v_fmac_f16_e32 v12, v28, v2
	s_wait_alu 0xfffd
	v_cndmask_b32_e64 v10, 0, 1, vcc_lo
	v_cmp_gt_i32_e32 vcc_lo, 1, v20
	v_mul_f16_e32 v2, v29, v2
	s_delay_alu instid0(VALU_DEP_3)
	v_lshl_or_b32 v10, v10, 9, 0x7c00
	s_wait_alu 0xfffd
	v_cndmask_b32_e32 v17, v13, v8, vcc_lo
	v_cvt_f32_f16_e32 v8, v12
	v_cmp_gt_i32_e32 vcc_lo, 31, v14
	v_and_or_b32 v4, 0x1ff, v5, v4
	v_fma_f16 v2, v28, v19, -v2
	v_and_b32_e32 v22, 7, v17
	v_lshrrev_b32_e32 v17, 2, v17
	s_wait_alu 0xfffd
	v_cndmask_b32_e32 v21, 0x7c00, v9, vcc_lo
	v_cvt_f64_f32_e32 v[8:9], v8
	v_add_co_u32 v12, vcc_lo, v6, s2
	s_wait_alu 0xfffd
	v_add_co_ci_u32_e32 v13, vcc_lo, s3, v7, vcc_lo
	v_cmp_eq_u32_e32 vcc_lo, 0x40f, v14
	v_cmp_ne_u32_e64 s0, 0, v4
	v_lshrrev_b32_e32 v14, 8, v5
	v_cvt_f32_f16_e32 v2, v2
	s_clause 0x1
	global_store_b32 v[6:7], v16, off
	global_store_b32 v[12:13], v18, off
	s_wait_alu 0xfffd
	v_cndmask_b32_e32 v10, v21, v10, vcc_lo
	v_cmp_lt_i32_e32 vcc_lo, 5, v22
	s_wait_alu 0xf1ff
	v_cndmask_b32_e64 v4, 0, 1, s0
	v_cmp_eq_u32_e64 s0, 3, v22
	v_bfe_u32 v21, v5, 20, 11
	v_and_or_b32 v31, 0x8000, v11, v10
	v_lshrrev_b32_e32 v16, 16, v3
	v_and_or_b32 v4, 0xffe, v14, v4
	s_or_b32 vcc_lo, s0, vcc_lo
	v_sub_nc_u32_e32 v14, 0x3f1, v21
	s_wait_alu 0xfffe
	v_add_co_ci_u32_e32 v17, vcc_lo, 0, v17, vcc_lo
	v_cmp_ne_u32_e32 vcc_lo, 0, v30
	v_or_b32_e32 v30, 0x1000, v4
	v_med3_i32 v14, v14, 0, 13
	v_and_or_b32 v0, 0x1ff, v1, v0
	v_add_nc_u32_e32 v19, 0xfffffc10, v21
	s_wait_alu 0xfffd
	v_cndmask_b32_e64 v22, 0, 1, vcc_lo
	v_cmp_gt_i32_e32 vcc_lo, 31, v20
	v_lshrrev_b32_e32 v10, v14, v30
	v_lshrrev_b32_e32 v5, 16, v5
	v_cmp_eq_u32_e64 s1, 0x40f, v19
	v_lshl_or_b32 v22, v22, 9, 0x7c00
	s_wait_alu 0xfffd
	v_cndmask_b32_e32 v17, 0x7c00, v17, vcc_lo
	v_cmp_eq_u32_e32 vcc_lo, 0x40f, v20
	v_lshlrev_b32_e32 v11, v14, v10
	v_lshrrev_b32_e32 v14, 8, v1
	v_bfe_u32 v20, v1, 20, 11
	v_mul_f64_e32 v[8:9], s[8:9], v[8:9]
	s_wait_alu 0xfffd
	v_cndmask_b32_e32 v17, v17, v22, vcc_lo
	v_cmp_ne_u32_e32 vcc_lo, 0, v0
	v_lshl_or_b32 v22, v19, 12, v4
	v_lshrrev_b32_e32 v1, 16, v1
	s_wait_alu 0xfffd
	v_cndmask_b32_e64 v0, 0, 1, vcc_lo
	v_cmp_ne_u32_e32 vcc_lo, v11, v30
	s_delay_alu instid0(VALU_DEP_2)
	v_and_or_b32 v0, 0xffe, v14, v0
	s_wait_alu 0xfffd
	v_cndmask_b32_e64 v11, 0, 1, vcc_lo
	v_sub_nc_u32_e32 v14, 0x3f1, v20
	v_cmp_gt_i32_e32 vcc_lo, 1, v19
	v_or_b32_e32 v28, 0x1000, v0
	s_delay_alu instid0(VALU_DEP_4) | instskip(NEXT) | instid1(VALU_DEP_4)
	v_or_b32_e32 v21, v10, v11
	v_med3_i32 v14, v14, 0, 13
	v_cvt_f64_f32_e32 v[10:11], v2
	v_and_or_b32 v2, 0x8000, v15, v17
	v_and_b32_e32 v15, 0xffff, v31
	s_wait_alu 0xfffd
	v_cndmask_b32_e32 v17, v22, v21, vcc_lo
	v_lshrrev_b32_e32 v21, v14, v28
	v_add_co_u32 v6, vcc_lo, v12, s2
	v_lshl_or_b32 v15, v2, 16, v15
	s_delay_alu instid0(VALU_DEP_4) | instskip(NEXT) | instid1(VALU_DEP_4)
	v_and_b32_e32 v2, 7, v17
	v_lshlrev_b32_e32 v14, v14, v21
	s_wait_alu 0xfffd
	v_add_co_ci_u32_e32 v7, vcc_lo, s3, v13, vcc_lo
	v_mul_f16_e32 v13, v27, v16
	v_cmp_lt_i32_e32 vcc_lo, 5, v2
	v_cmp_ne_u32_e64 s0, v14, v28
	v_add_nc_u32_e32 v14, 0xfffffc10, v20
	s_delay_alu instid0(VALU_DEP_4)
	v_fmac_f16_e32 v13, v25, v3
	v_and_or_b32 v8, 0x1ff, v9, v8
	s_wait_alu 0xf1ff
	v_cndmask_b32_e64 v12, 0, 1, s0
	v_cmp_eq_u32_e64 s0, 3, v2
	v_lshrrev_b32_e32 v2, 2, v17
	v_lshl_or_b32 v17, v14, 12, v0
	v_cvt_f32_f16_e32 v13, v13
	v_or_b32_e32 v12, v21, v12
	s_or_b32 vcc_lo, s0, vcc_lo
	v_lshrrev_b32_e32 v18, 8, v9
	s_wait_alu 0xfffe
	v_add_co_ci_u32_e32 v2, vcc_lo, 0, v2, vcc_lo
	v_cmp_gt_i32_e32 vcc_lo, 1, v14
	v_bfe_u32 v20, v9, 20, 11
	s_wait_alu 0xfffd
	v_cndmask_b32_e32 v17, v17, v12, vcc_lo
	v_cmp_ne_u32_e32 vcc_lo, 0, v8
	v_cvt_f64_f32_e32 v[12:13], v13
	v_mul_f64_e32 v[10:11], s[8:9], v[10:11]
	s_wait_alu 0xfffd
	v_cndmask_b32_e64 v8, 0, 1, vcc_lo
	v_cmp_ne_u32_e32 vcc_lo, 0, v4
	s_delay_alu instid0(VALU_DEP_2)
	v_and_or_b32 v8, 0xffe, v18, v8
	s_wait_alu 0xfffd
	v_cndmask_b32_e64 v4, 0, 1, vcc_lo
	v_cmp_gt_i32_e32 vcc_lo, 31, v19
	v_and_b32_e32 v21, 7, v17
	v_sub_nc_u32_e32 v18, 0x3f1, v20
	v_lshrrev_b32_e32 v17, 2, v17
	v_lshl_or_b32 v4, v4, 9, 0x7c00
	s_wait_alu 0xfffd
	v_cndmask_b32_e32 v2, 0x7c00, v2, vcc_lo
	v_cmp_lt_i32_e32 vcc_lo, 5, v21
	v_cmp_eq_u32_e64 s0, 3, v21
	v_or_b32_e32 v22, 0x1000, v8
	v_med3_i32 v18, v18, 0, 13
	v_cndmask_b32_e64 v2, v2, v4, s1
	s_delay_alu instid0(VALU_DEP_4)
	s_or_b32 vcc_lo, s0, vcc_lo
	s_wait_alu 0xfffe
	v_add_co_ci_u32_e32 v17, vcc_lo, 0, v17, vcc_lo
	v_lshrrev_b32_e32 v4, v18, v22
	v_cmp_ne_u32_e32 vcc_lo, 0, v0
	v_and_or_b32 v5, 0x8000, v5, v2
	s_delay_alu instid0(VALU_DEP_3) | instskip(SKIP_4) | instid1(VALU_DEP_3)
	v_lshlrev_b32_e32 v18, v18, v4
	s_wait_alu 0xfffd
	v_cndmask_b32_e64 v0, 0, 1, vcc_lo
	v_cmp_gt_i32_e32 vcc_lo, 31, v14
	v_and_b32_e32 v5, 0xffff, v5
	v_lshl_or_b32 v0, v0, 9, 0x7c00
	s_wait_alu 0xfffd
	v_cndmask_b32_e32 v17, 0x7c00, v17, vcc_lo
	v_cmp_ne_u32_e32 vcc_lo, v18, v22
	v_mul_f16_e32 v18, v27, v3
	v_and_or_b32 v10, 0x1ff, v11, v10
	s_wait_alu 0xfffd
	v_cndmask_b32_e64 v2, 0, 1, vcc_lo
	v_cmp_eq_u32_e32 vcc_lo, 0x40f, v14
	v_add_nc_u32_e32 v14, 0xfffffc10, v20
	s_delay_alu instid0(VALU_DEP_3)
	v_or_b32_e32 v4, v4, v2
	s_wait_alu 0xfffd
	v_cndmask_b32_e32 v0, v17, v0, vcc_lo
	ds_load_b32 v17, v26 offset:264
	v_mul_f64_e32 v[2:3], s[8:9], v[12:13]
	v_lshl_or_b32 v12, v14, 12, v8
	v_fma_f16 v13, v25, v16, -v18
	v_cmp_gt_i32_e32 vcc_lo, 1, v14
	v_bfe_u32 v16, v11, 20, 11
	v_and_or_b32 v18, 0x8000, v1, v0
	s_wait_alu 0xfffd
	v_cndmask_b32_e32 v4, v12, v4, vcc_lo
	v_cmp_ne_u32_e32 vcc_lo, 0, v10
	v_cvt_f32_f16_e32 v12, v13
	v_lshrrev_b32_e32 v13, 8, v11
	v_lshl_or_b32 v18, v18, 16, v5
	v_and_b32_e32 v19, 7, v4
	s_wait_alu 0xfffd
	v_cndmask_b32_e64 v10, 0, 1, vcc_lo
	v_cvt_f64_f32_e32 v[0:1], v12
	v_sub_nc_u32_e32 v12, 0x3f1, v16
	v_lshrrev_b32_e32 v4, 2, v4
	v_cmp_lt_i32_e32 vcc_lo, 5, v19
	v_and_or_b32 v10, 0xffe, v13, v10
	s_wait_dscnt 0x0
	v_lshrrev_b32_e32 v13, 16, v17
	v_cmp_eq_u32_e64 s0, 3, v19
	v_med3_i32 v12, v12, 0, 13
	v_add_nc_u32_e32 v16, 0xfffffc10, v16
	v_or_b32_e32 v20, 0x1000, v10
	v_mul_f16_e32 v21, v24, v13
	s_or_b32 vcc_lo, s0, vcc_lo
	s_wait_alu 0xfffe
	v_add_co_ci_u32_e32 v4, vcc_lo, 0, v4, vcc_lo
	v_lshrrev_b32_e32 v19, v12, v20
	v_fmac_f16_e32 v21, v23, v17
	v_cmp_ne_u32_e32 vcc_lo, 0, v8
	s_delay_alu instid0(VALU_DEP_3) | instskip(NEXT) | instid1(VALU_DEP_3)
	v_lshlrev_b32_e32 v8, v12, v19
	v_cvt_f32_f16_e32 v12, v21
	s_wait_alu 0xfffd
	v_cndmask_b32_e64 v5, 0, 1, vcc_lo
	v_cmp_gt_i32_e32 vcc_lo, 31, v14
	v_and_or_b32 v2, 0x1ff, v3, v2
	s_delay_alu instid0(VALU_DEP_3)
	v_lshl_or_b32 v22, v5, 9, 0x7c00
	s_wait_alu 0xfffd
	v_cndmask_b32_e32 v21, 0x7c00, v4, vcc_lo
	v_cvt_f64_f32_e32 v[4:5], v12
	v_cmp_ne_u32_e32 vcc_lo, v8, v20
	v_mul_f16_e32 v12, v24, v17
	v_lshrrev_b32_e32 v17, 8, v3
	s_wait_alu 0xfffd
	v_cndmask_b32_e64 v8, 0, 1, vcc_lo
	v_cmp_ne_u32_e32 vcc_lo, 0, v2
	v_fma_f16 v12, v23, v13, -v12
	v_lshl_or_b32 v13, v16, 12, v10
	v_mul_f64_e32 v[0:1], s[8:9], v[0:1]
	v_or_b32_e32 v8, v19, v8
	s_wait_alu 0xfffd
	v_cndmask_b32_e64 v2, 0, 1, vcc_lo
	v_bfe_u32 v19, v3, 20, 11
	v_cmp_gt_i32_e32 vcc_lo, 1, v16
	v_cvt_f32_f16_e32 v12, v12
	v_lshrrev_b32_e32 v3, 16, v3
	v_and_or_b32 v2, 0xffe, v17, v2
	v_sub_nc_u32_e32 v17, 0x3f1, v19
	s_wait_alu 0xfffd
	v_cndmask_b32_e32 v20, v13, v8, vcc_lo
	v_cmp_eq_u32_e32 vcc_lo, 0x40f, v14
	v_cvt_f64_f32_e32 v[12:13], v12
	v_or_b32_e32 v23, 0x1000, v2
	v_med3_i32 v17, v17, 0, 13
	s_wait_alu 0xfffd
	v_dual_cndmask_b32 v14, v21, v22 :: v_dual_add_nc_u32 v19, 0xfffffc10, v19
	v_and_b32_e32 v22, 7, v20
	v_add_co_u32 v8, vcc_lo, v6, s2
	v_lshrrev_b32_e32 v24, v17, v23
	v_lshrrev_b32_e32 v21, 16, v9
	s_wait_alu 0xfffd
	v_add_co_ci_u32_e32 v9, vcc_lo, s3, v7, vcc_lo
	v_cmp_lt_i32_e32 vcc_lo, 5, v22
	v_cmp_eq_u32_e64 s0, 3, v22
	v_lshrrev_b32_e32 v20, 2, v20
	v_lshlrev_b32_e32 v17, v17, v24
	v_and_or_b32 v14, 0x8000, v21, v14
	v_mul_f64_e32 v[4:5], s[8:9], v[4:5]
	s_or_b32 vcc_lo, s0, vcc_lo
	v_lshl_or_b32 v21, v19, 12, v2
	s_wait_alu 0xfffe
	v_add_co_ci_u32_e32 v20, vcc_lo, 0, v20, vcc_lo
	v_cmp_ne_u32_e64 s1, v17, v23
	v_cmp_ne_u32_e32 vcc_lo, 0, v10
	v_and_b32_e32 v14, 0xffff, v14
	s_wait_alu 0xf1ff
	s_delay_alu instid0(VALU_DEP_3)
	v_cndmask_b32_e64 v17, 0, 1, s1
	s_wait_alu 0xfffd
	v_cndmask_b32_e64 v10, 0, 1, vcc_lo
	v_cmp_gt_i32_e32 vcc_lo, 31, v16
	v_and_or_b32 v0, 0x1ff, v1, v0
	v_lshrrev_b32_e32 v22, 8, v1
	v_or_b32_e32 v17, v24, v17
	v_lshl_or_b32 v10, v10, 9, 0x7c00
	s_wait_alu 0xfffd
	v_cndmask_b32_e32 v20, 0x7c00, v20, vcc_lo
	v_cmp_gt_i32_e32 vcc_lo, 1, v19
	s_wait_alu 0xfffd
	v_cndmask_b32_e32 v17, v21, v17, vcc_lo
	v_cmp_eq_u32_e32 vcc_lo, 0x40f, v16
	s_wait_alu 0xfffd
	s_delay_alu instid0(VALU_DEP_2)
	v_dual_cndmask_b32 v16, v20, v10 :: v_dual_and_b32 v21, 7, v17
	v_lshrrev_b32_e32 v20, 16, v11
	v_cmp_ne_u32_e32 vcc_lo, 0, v0
	v_mul_f64_e32 v[10:11], s[8:9], v[12:13]
	v_bfe_u32 v12, v1, 20, 11
	v_cmp_eq_u32_e64 s0, 3, v21
	v_and_or_b32 v13, 0x8000, v20, v16
	s_wait_alu 0xfffd
	v_cndmask_b32_e64 v0, 0, 1, vcc_lo
	v_cmp_lt_i32_e32 vcc_lo, 5, v21
	v_sub_nc_u32_e32 v16, 0x3f1, v12
	v_and_or_b32 v4, 0x1ff, v5, v4
	v_lshl_or_b32 v13, v13, 16, v14
	v_lshrrev_b32_e32 v14, 2, v17
	v_and_or_b32 v0, 0xffe, v22, v0
	s_or_b32 vcc_lo, s0, vcc_lo
	v_med3_i32 v16, v16, 0, 13
	v_lshrrev_b32_e32 v21, 8, v5
	s_wait_alu 0xfffe
	v_add_co_ci_u32_e32 v14, vcc_lo, 0, v14, vcc_lo
	v_or_b32_e32 v17, 0x1000, v0
	v_cmp_ne_u32_e32 vcc_lo, 0, v2
	v_bfe_u32 v22, v5, 20, 11
	v_add_nc_u32_e32 v12, 0xfffffc10, v12
	v_lshrrev_b32_e32 v1, 16, v1
	v_lshrrev_b32_e32 v20, v16, v17
	s_wait_alu 0xfffd
	v_cndmask_b32_e64 v2, 0, 1, vcc_lo
	v_cmp_gt_i32_e32 vcc_lo, 31, v19
	v_lshrrev_b32_e32 v5, 16, v5
	v_lshlrev_b32_e32 v16, v16, v20
	s_delay_alu instid0(VALU_DEP_4)
	v_lshl_or_b32 v2, v2, 9, 0x7c00
	s_wait_alu 0xfffd
	v_cndmask_b32_e32 v14, 0x7c00, v14, vcc_lo
	v_cmp_ne_u32_e32 vcc_lo, 0, v4
	s_wait_alu 0xfffd
	v_cndmask_b32_e64 v4, 0, 1, vcc_lo
	v_cmp_ne_u32_e32 vcc_lo, v16, v17
	v_sub_nc_u32_e32 v17, 0x3f1, v22
	v_and_or_b32 v10, 0x1ff, v11, v10
	s_delay_alu instid0(VALU_DEP_4)
	v_and_or_b32 v4, 0xffe, v21, v4
	s_wait_alu 0xfffd
	v_cndmask_b32_e64 v16, 0, 1, vcc_lo
	v_cmp_eq_u32_e32 vcc_lo, 0x40f, v19
	v_med3_i32 v17, v17, 0, 13
	v_bfe_u32 v21, v11, 20, 11
	v_or_b32_e32 v19, 0x1000, v4
	s_wait_alu 0xfffd
	v_cndmask_b32_e32 v2, v14, v2, vcc_lo
	v_or_b32_e32 v14, v20, v16
	v_lshl_or_b32 v16, v12, 12, v0
	v_cmp_gt_i32_e32 vcc_lo, 1, v12
	v_lshrrev_b32_e32 v20, 8, v11
	v_and_or_b32 v2, 0x8000, v3, v2
	s_wait_alu 0xfffd
	v_cndmask_b32_e32 v14, v16, v14, vcc_lo
	v_lshrrev_b32_e32 v16, v17, v19
	v_cmp_ne_u32_e32 vcc_lo, 0, v10
	v_and_b32_e32 v2, 0xffff, v2
	s_delay_alu instid0(VALU_DEP_3) | instskip(SKIP_2) | instid1(VALU_DEP_2)
	v_lshlrev_b32_e32 v17, v17, v16
	s_wait_alu 0xfffd
	v_cndmask_b32_e64 v10, 0, 1, vcc_lo
	v_cmp_ne_u32_e64 s0, v17, v19
	s_delay_alu instid0(VALU_DEP_2)
	v_and_or_b32 v3, 0xffe, v20, v10
	v_add_nc_u32_e32 v20, 0xfffffc10, v22
	v_sub_nc_u32_e32 v10, 0x3f1, v21
	s_wait_alu 0xf1ff
	v_cndmask_b32_e64 v17, 0, 1, s0
	v_or_b32_e32 v19, 0x1000, v3
	v_lshl_or_b32 v22, v20, 12, v4
	v_med3_i32 v10, v10, 0, 13
	s_delay_alu instid0(VALU_DEP_4) | instskip(SKIP_2) | instid1(VALU_DEP_4)
	v_or_b32_e32 v16, v16, v17
	v_and_b32_e32 v23, 7, v14
	v_lshrrev_b32_e32 v14, 2, v14
	v_lshrrev_b32_e32 v17, v10, v19
	s_delay_alu instid0(VALU_DEP_3) | instskip(SKIP_1) | instid1(VALU_DEP_3)
	v_cmp_lt_i32_e32 vcc_lo, 5, v23
	v_cmp_eq_u32_e64 s0, 3, v23
	v_lshlrev_b32_e32 v10, v10, v17
	s_delay_alu instid0(VALU_DEP_2)
	s_or_b32 vcc_lo, s0, vcc_lo
	s_wait_alu 0xfffe
	v_add_co_ci_u32_e32 v14, vcc_lo, 0, v14, vcc_lo
	v_cmp_gt_i32_e32 vcc_lo, 1, v20
	s_wait_alu 0xfffd
	v_cndmask_b32_e32 v16, v22, v16, vcc_lo
	v_cmp_ne_u32_e32 vcc_lo, 0, v0
	s_wait_alu 0xfffd
	v_cndmask_b32_e64 v0, 0, 1, vcc_lo
	v_cmp_ne_u32_e32 vcc_lo, v10, v19
	v_add_nc_u32_e32 v19, 0xfffffc10, v21
	s_delay_alu instid0(VALU_DEP_3)
	v_lshl_or_b32 v0, v0, 9, 0x7c00
	s_wait_alu 0xfffd
	v_cndmask_b32_e64 v10, 0, 1, vcc_lo
	v_cmp_gt_i32_e32 vcc_lo, 31, v12
	v_and_b32_e32 v21, 7, v16
	v_cmp_gt_i32_e64 s1, 1, v19
	s_delay_alu instid0(VALU_DEP_4)
	v_or_b32_e32 v10, v17, v10
	s_wait_alu 0xfffd
	v_cndmask_b32_e32 v14, 0x7c00, v14, vcc_lo
	v_lshl_or_b32 v17, v19, 12, v3
	v_cmp_lt_i32_e32 vcc_lo, 5, v21
	v_cmp_eq_u32_e64 s0, 3, v21
	s_wait_alu 0xf1ff
	s_delay_alu instid0(VALU_DEP_3) | instskip(SKIP_3) | instid1(VALU_DEP_2)
	v_cndmask_b32_e64 v10, v17, v10, s1
	v_cmp_eq_u32_e64 s1, 0x40f, v12
	v_lshrrev_b32_e32 v12, 2, v16
	s_or_b32 vcc_lo, s0, vcc_lo
	v_cndmask_b32_e64 v0, v14, v0, s1
	s_wait_alu 0xfffe
	s_delay_alu instid0(VALU_DEP_2) | instskip(SKIP_4) | instid1(VALU_DEP_4)
	v_add_co_ci_u32_e32 v12, vcc_lo, 0, v12, vcc_lo
	v_and_b32_e32 v14, 7, v10
	v_cmp_ne_u32_e32 vcc_lo, 0, v4
	v_lshrrev_b32_e32 v10, 2, v10
	v_cmp_gt_i32_e64 s1, 31, v20
	v_cmp_eq_u32_e64 s0, 3, v14
	s_wait_alu 0xfffd
	v_cndmask_b32_e64 v4, 0, 1, vcc_lo
	v_cmp_lt_i32_e32 vcc_lo, 5, v14
	s_wait_alu 0xf1ff
	v_cndmask_b32_e64 v12, 0x7c00, v12, s1
	s_delay_alu instid0(VALU_DEP_3)
	v_lshl_or_b32 v4, v4, 9, 0x7c00
	s_or_b32 vcc_lo, s0, vcc_lo
	s_wait_alu 0xfffe
	v_add_co_ci_u32_e32 v10, vcc_lo, 0, v10, vcc_lo
	v_cmp_ne_u32_e32 vcc_lo, 0, v3
	s_wait_alu 0xfffd
	v_cndmask_b32_e64 v3, 0, 1, vcc_lo
	v_cmp_eq_u32_e32 vcc_lo, 0x40f, v20
	s_delay_alu instid0(VALU_DEP_2) | instskip(SKIP_4) | instid1(VALU_DEP_3)
	v_lshl_or_b32 v3, v3, 9, 0x7c00
	s_wait_alu 0xfffd
	v_cndmask_b32_e32 v4, v12, v4, vcc_lo
	v_cmp_gt_i32_e32 vcc_lo, 31, v19
	v_and_or_b32 v12, 0x8000, v1, v0
	v_and_or_b32 v4, 0x8000, v5, v4
	s_wait_alu 0xfffd
	v_cndmask_b32_e32 v10, 0x7c00, v10, vcc_lo
	v_cmp_eq_u32_e32 vcc_lo, 0x40f, v19
	v_lshrrev_b32_e32 v5, 16, v11
	s_wait_alu 0xfffd
	s_delay_alu instid0(VALU_DEP_3)
	v_dual_cndmask_b32 v3, v10, v3 :: v_dual_and_b32 v4, 0xffff, v4
	v_add_co_u32 v0, vcc_lo, v8, s2
	s_wait_alu 0xfffd
	v_add_co_ci_u32_e32 v1, vcc_lo, s3, v9, vcc_lo
	v_lshl_or_b32 v10, v12, 16, v2
	v_and_or_b32 v5, 0x8000, v5, v3
	v_add_co_u32 v2, vcc_lo, v0, s2
	s_wait_alu 0xfffd
	v_add_co_ci_u32_e32 v3, vcc_lo, s3, v1, vcc_lo
	s_delay_alu instid0(VALU_DEP_3) | instskip(NEXT) | instid1(VALU_DEP_3)
	v_lshl_or_b32 v11, v5, 16, v4
	v_add_co_u32 v4, vcc_lo, v2, s2
	s_wait_alu 0xfffd
	s_delay_alu instid0(VALU_DEP_3)
	v_add_co_ci_u32_e32 v5, vcc_lo, s3, v3, vcc_lo
	s_clause 0x2
	global_store_b32 v[6:7], v15, off
	global_store_b32 v[8:9], v18, off
	global_store_b32 v[0:1], v13, off
	global_store_b32 v[2:3], v10, off
	global_store_b32 v[4:5], v11, off
.LBB0_10:
	s_nop 0
	s_sendmsg sendmsg(MSG_DEALLOC_VGPRS)
	s_endpgm
	.section	.rodata,"a",@progbits
	.p2align	6, 0x0
	.amdhsa_kernel bluestein_single_back_len77_dim1_half_op_CI_CI
		.amdhsa_group_segment_fixed_size 7084
		.amdhsa_private_segment_fixed_size 0
		.amdhsa_kernarg_size 104
		.amdhsa_user_sgpr_count 2
		.amdhsa_user_sgpr_dispatch_ptr 0
		.amdhsa_user_sgpr_queue_ptr 0
		.amdhsa_user_sgpr_kernarg_segment_ptr 1
		.amdhsa_user_sgpr_dispatch_id 0
		.amdhsa_user_sgpr_private_segment_size 0
		.amdhsa_wavefront_size32 1
		.amdhsa_uses_dynamic_stack 0
		.amdhsa_enable_private_segment 0
		.amdhsa_system_sgpr_workgroup_id_x 1
		.amdhsa_system_sgpr_workgroup_id_y 0
		.amdhsa_system_sgpr_workgroup_id_z 0
		.amdhsa_system_sgpr_workgroup_info 0
		.amdhsa_system_vgpr_workitem_id 0
		.amdhsa_next_free_vgpr 176
		.amdhsa_next_free_sgpr 20
		.amdhsa_reserve_vcc 1
		.amdhsa_float_round_mode_32 0
		.amdhsa_float_round_mode_16_64 0
		.amdhsa_float_denorm_mode_32 3
		.amdhsa_float_denorm_mode_16_64 3
		.amdhsa_fp16_overflow 0
		.amdhsa_workgroup_processor_mode 1
		.amdhsa_memory_ordered 1
		.amdhsa_forward_progress 0
		.amdhsa_round_robin_scheduling 0
		.amdhsa_exception_fp_ieee_invalid_op 0
		.amdhsa_exception_fp_denorm_src 0
		.amdhsa_exception_fp_ieee_div_zero 0
		.amdhsa_exception_fp_ieee_overflow 0
		.amdhsa_exception_fp_ieee_underflow 0
		.amdhsa_exception_fp_ieee_inexact 0
		.amdhsa_exception_int_div_zero 0
	.end_amdhsa_kernel
	.text
.Lfunc_end0:
	.size	bluestein_single_back_len77_dim1_half_op_CI_CI, .Lfunc_end0-bluestein_single_back_len77_dim1_half_op_CI_CI
                                        ; -- End function
	.section	.AMDGPU.csdata,"",@progbits
; Kernel info:
; codeLenInByte = 12896
; NumSgprs: 22
; NumVgprs: 176
; ScratchSize: 0
; MemoryBound: 0
; FloatMode: 240
; IeeeMode: 1
; LDSByteSize: 7084 bytes/workgroup (compile time only)
; SGPRBlocks: 2
; VGPRBlocks: 21
; NumSGPRsForWavesPerEU: 22
; NumVGPRsForWavesPerEU: 176
; Occupancy: 8
; WaveLimiterHint : 1
; COMPUTE_PGM_RSRC2:SCRATCH_EN: 0
; COMPUTE_PGM_RSRC2:USER_SGPR: 2
; COMPUTE_PGM_RSRC2:TRAP_HANDLER: 0
; COMPUTE_PGM_RSRC2:TGID_X_EN: 1
; COMPUTE_PGM_RSRC2:TGID_Y_EN: 0
; COMPUTE_PGM_RSRC2:TGID_Z_EN: 0
; COMPUTE_PGM_RSRC2:TIDIG_COMP_CNT: 0
	.text
	.p2alignl 7, 3214868480
	.fill 96, 4, 3214868480
	.type	__hip_cuid_c81ea8ead0a34cc1,@object ; @__hip_cuid_c81ea8ead0a34cc1
	.section	.bss,"aw",@nobits
	.globl	__hip_cuid_c81ea8ead0a34cc1
__hip_cuid_c81ea8ead0a34cc1:
	.byte	0                               ; 0x0
	.size	__hip_cuid_c81ea8ead0a34cc1, 1

	.ident	"AMD clang version 19.0.0git (https://github.com/RadeonOpenCompute/llvm-project roc-6.4.0 25133 c7fe45cf4b819c5991fe208aaa96edf142730f1d)"
	.section	".note.GNU-stack","",@progbits
	.addrsig
	.addrsig_sym __hip_cuid_c81ea8ead0a34cc1
	.amdgpu_metadata
---
amdhsa.kernels:
  - .args:
      - .actual_access:  read_only
        .address_space:  global
        .offset:         0
        .size:           8
        .value_kind:     global_buffer
      - .actual_access:  read_only
        .address_space:  global
        .offset:         8
        .size:           8
        .value_kind:     global_buffer
      - .actual_access:  read_only
        .address_space:  global
        .offset:         16
        .size:           8
        .value_kind:     global_buffer
      - .actual_access:  read_only
        .address_space:  global
        .offset:         24
        .size:           8
        .value_kind:     global_buffer
      - .actual_access:  read_only
        .address_space:  global
        .offset:         32
        .size:           8
        .value_kind:     global_buffer
      - .offset:         40
        .size:           8
        .value_kind:     by_value
      - .address_space:  global
        .offset:         48
        .size:           8
        .value_kind:     global_buffer
      - .address_space:  global
        .offset:         56
        .size:           8
        .value_kind:     global_buffer
      - .address_space:  global
        .offset:         64
        .size:           8
        .value_kind:     global_buffer
      - .address_space:  global
        .offset:         72
        .size:           8
        .value_kind:     global_buffer
      - .offset:         80
        .size:           4
        .value_kind:     by_value
      - .address_space:  global
        .offset:         88
        .size:           8
        .value_kind:     global_buffer
      - .address_space:  global
        .offset:         96
        .size:           8
        .value_kind:     global_buffer
    .group_segment_fixed_size: 7084
    .kernarg_segment_align: 8
    .kernarg_segment_size: 104
    .language:       OpenCL C
    .language_version:
      - 2
      - 0
    .max_flat_workgroup_size: 253
    .name:           bluestein_single_back_len77_dim1_half_op_CI_CI
    .private_segment_fixed_size: 0
    .sgpr_count:     22
    .sgpr_spill_count: 0
    .symbol:         bluestein_single_back_len77_dim1_half_op_CI_CI.kd
    .uniform_work_group_size: 1
    .uses_dynamic_stack: false
    .vgpr_count:     176
    .vgpr_spill_count: 0
    .wavefront_size: 32
    .workgroup_processor_mode: 1
amdhsa.target:   amdgcn-amd-amdhsa--gfx1201
amdhsa.version:
  - 1
  - 2
...

	.end_amdgpu_metadata
